;; amdgpu-corpus repo=ROCm/rocFFT kind=compiled arch=gfx906 opt=O3
	.text
	.amdgcn_target "amdgcn-amd-amdhsa--gfx906"
	.amdhsa_code_object_version 6
	.protected	bluestein_single_fwd_len1456_dim1_half_op_CI_CI ; -- Begin function bluestein_single_fwd_len1456_dim1_half_op_CI_CI
	.globl	bluestein_single_fwd_len1456_dim1_half_op_CI_CI
	.p2align	8
	.type	bluestein_single_fwd_len1456_dim1_half_op_CI_CI,@function
bluestein_single_fwd_len1456_dim1_half_op_CI_CI: ; @bluestein_single_fwd_len1456_dim1_half_op_CI_CI
; %bb.0:
	s_load_dwordx4 s[0:3], s[4:5], 0x28
	v_mul_u32_u24_e32 v1, 0x169, v0
	v_add_u32_sdwa v14, s6, v1 dst_sel:DWORD dst_unused:UNUSED_PAD src0_sel:DWORD src1_sel:WORD_1
	v_mov_b32_e32 v15, 0
	s_waitcnt lgkmcnt(0)
	v_cmp_gt_u64_e32 vcc, s[0:1], v[14:15]
	s_and_saveexec_b64 s[0:1], vcc
	s_cbranch_execz .LBB0_23
; %bb.1:
	s_load_dwordx2 s[6:7], s[4:5], 0x0
	s_load_dwordx2 s[12:13], s[4:5], 0x38
	s_movk_i32 s0, 0xb6
	v_mul_lo_u16_sdwa v1, v1, s0 dst_sel:DWORD dst_unused:UNUSED_PAD src0_sel:WORD_1 src1_sel:DWORD
	v_sub_u16_e32 v37, v0, v1
	s_movk_i32 s0, 0x70
	v_cmp_gt_u16_e64 s[0:1], s0, v37
	v_lshlrev_b32_e32 v36, 2, v37
	s_and_saveexec_b64 s[14:15], s[0:1]
	s_cbranch_execz .LBB0_3
; %bb.2:
	s_load_dwordx2 s[8:9], s[4:5], 0x18
	v_mov_b32_e32 v17, 0x380
	s_waitcnt lgkmcnt(0)
	s_load_dwordx4 s[8:11], s[8:9], 0x0
	s_waitcnt lgkmcnt(0)
	v_mad_u64_u32 v[0:1], s[16:17], s10, v14, 0
	v_mad_u64_u32 v[2:3], s[16:17], s8, v37, 0
	s_mul_i32 s16, s8, 0x1c0
	s_mul_i32 s17, s9, 0x380
	v_mad_u64_u32 v[4:5], s[10:11], s11, v14, v[1:2]
	v_mad_u64_u32 v[5:6], s[10:11], s9, v37, v[3:4]
	v_mov_b32_e32 v1, v4
	v_lshlrev_b64 v[0:1], 2, v[0:1]
	v_mov_b32_e32 v3, v5
	v_mov_b32_e32 v6, s3
	v_lshlrev_b64 v[2:3], 2, v[2:3]
	v_add_co_u32_e32 v5, vcc, s2, v0
	v_addc_co_u32_e32 v6, vcc, v6, v1, vcc
	v_add_co_u32_e32 v0, vcc, v5, v2
	v_addc_co_u32_e32 v1, vcc, v6, v3, vcc
	global_load_dword v7, v[0:1], off
	global_load_dword v8, v36, s[6:7]
	v_mov_b32_e32 v2, s7
	v_add_co_u32_e32 v18, vcc, s6, v36
	s_mul_i32 s10, s9, 0x1c0
	s_mul_hi_u32 s11, s8, 0x1c0
	v_addc_co_u32_e32 v19, vcc, 0, v2, vcc
	s_add_i32 s10, s11, s10
	v_or_b32_e32 v4, 0x380, v37
	v_mov_b32_e32 v20, s10
	v_add_co_u32_e32 v0, vcc, s16, v0
	v_mad_u64_u32 v[2:3], s[2:3], s8, v4, 0
	v_addc_co_u32_e32 v1, vcc, v1, v20, vcc
	global_load_dword v9, v36, s[6:7] offset:448
	global_load_dword v10, v36, s[6:7] offset:896
	;; [unrolled: 1-line block ×7, first 2 shown]
	v_mov_b32_e32 v21, s10
	global_load_dword v20, v[0:1], off
	v_add_co_u32_e32 v0, vcc, s16, v0
	v_addc_co_u32_e32 v1, vcc, v1, v21, vcc
	v_mov_b32_e32 v22, s10
	global_load_dword v21, v[0:1], off
	v_add_co_u32_e32 v0, vcc, s16, v0
	v_mad_u64_u32 v[3:4], s[2:3], s9, v4, v[3:4]
	v_addc_co_u32_e32 v1, vcc, v1, v22, vcc
	global_load_dword v4, v[0:1], off
	v_mov_b32_e32 v23, s10
	v_add_co_u32_e32 v0, vcc, s16, v0
	v_addc_co_u32_e32 v1, vcc, v1, v23, vcc
	global_load_dword v23, v[0:1], off
	v_mov_b32_e32 v24, s10
	v_add_co_u32_e32 v0, vcc, s16, v0
	v_lshlrev_b64 v[2:3], 2, v[2:3]
	v_addc_co_u32_e32 v1, vcc, v1, v24, vcc
	global_load_dword v24, v[0:1], off
	v_add_co_u32_e32 v2, vcc, v5, v2
	v_addc_co_u32_e32 v3, vcc, v6, v3, vcc
	v_add_co_u32_e32 v0, vcc, s16, v0
	v_addc_co_u32_e32 v1, vcc, v1, v22, vcc
	v_mov_b32_e32 v25, s10
	global_load_dword v5, v[0:1], off
	global_load_dword v6, v[2:3], off
	v_add_co_u32_e32 v0, vcc, s16, v0
	v_addc_co_u32_e32 v1, vcc, v1, v25, vcc
	global_load_dword v22, v[0:1], off
	v_mad_u64_u32 v[0:1], s[2:3], s8, v17, v[0:1]
	s_movk_i32 s2, 0x1000
	v_add_u32_e32 v1, s17, v1
	global_load_dword v26, v[0:1], off
	global_load_dword v27, v36, s[6:7] offset:3584
	global_load_dword v28, v36, s[6:7] offset:4032
	v_add_co_u32_e32 v0, vcc, s16, v0
	s_waitcnt vmcnt(19)
	v_lshrrev_b32_e32 v2, 16, v7
	s_waitcnt vmcnt(18)
	v_mul_f16_sdwa v3, v8, v7 dst_sel:DWORD dst_unused:UNUSED_PAD src0_sel:WORD_1 src1_sel:DWORD
	v_fma_f16 v17, v8, v2, -v3
	v_mul_f16_sdwa v25, v8, v2 dst_sel:DWORD dst_unused:UNUSED_PAD src0_sel:WORD_1 src1_sel:DWORD
	v_mov_b32_e32 v2, s10
	v_addc_co_u32_e32 v1, vcc, v1, v2, vcc
	v_add_co_u32_e32 v2, vcc, s2, v18
	global_load_dword v29, v[0:1], off
	v_addc_co_u32_e32 v3, vcc, 0, v19, vcc
	global_load_dword v19, v[2:3], off offset:384
	v_mov_b32_e32 v18, s10
	v_add_co_u32_e32 v0, vcc, s16, v0
	v_addc_co_u32_e32 v1, vcc, v1, v18, vcc
	global_load_dword v18, v[0:1], off
	global_load_dword v30, v[2:3], off offset:832
	v_fma_f16 v7, v8, v7, v25
	v_mov_b32_e32 v8, s10
	v_add_co_u32_e32 v0, vcc, s16, v0
	v_addc_co_u32_e32 v1, vcc, v1, v8, vcc
	global_load_dword v8, v[0:1], off
	global_load_dword v25, v[2:3], off offset:1280
	s_waitcnt vmcnt(16)
	v_lshrrev_b32_e32 v0, 16, v20
	v_mul_f16_sdwa v1, v9, v20 dst_sel:DWORD dst_unused:UNUSED_PAD src0_sel:WORD_1 src1_sel:DWORD
	v_fma_f16 v1, v9, v0, -v1
	v_mul_f16_sdwa v0, v9, v0 dst_sel:DWORD dst_unused:UNUSED_PAD src0_sel:WORD_1 src1_sel:DWORD
	v_fma_f16 v0, v9, v20, v0
	s_waitcnt vmcnt(15)
	v_lshrrev_b32_e32 v2, 16, v21
	v_mul_f16_sdwa v3, v10, v21 dst_sel:DWORD dst_unused:UNUSED_PAD src0_sel:WORD_1 src1_sel:DWORD
	v_pack_b32_f16 v7, v7, v17
	v_pack_b32_f16 v0, v0, v1
	s_waitcnt vmcnt(14)
	v_lshrrev_b32_e32 v1, 16, v4
	v_fma_f16 v3, v10, v2, -v3
	v_mul_f16_sdwa v2, v10, v2 dst_sel:DWORD dst_unused:UNUSED_PAD src0_sel:WORD_1 src1_sel:DWORD
	ds_write2_b32 v36, v7, v0 offset1:112
	v_mul_f16_sdwa v0, v11, v4 dst_sel:DWORD dst_unused:UNUSED_PAD src0_sel:WORD_1 src1_sel:DWORD
	v_mul_f16_sdwa v7, v11, v1 dst_sel:DWORD dst_unused:UNUSED_PAD src0_sel:WORD_1 src1_sel:DWORD
	v_fma_f16 v2, v10, v21, v2
	v_fma_f16 v0, v11, v1, -v0
	v_fma_f16 v1, v11, v4, v7
	v_add_u32_e32 v9, 0x200, v36
	v_pack_b32_f16 v2, v2, v3
	v_pack_b32_f16 v0, v1, v0
	ds_write2_b32 v9, v2, v0 offset0:96 offset1:208
	s_waitcnt vmcnt(13)
	v_lshrrev_b32_e32 v0, 16, v23
	v_mul_f16_sdwa v1, v12, v0 dst_sel:DWORD dst_unused:UNUSED_PAD src0_sel:WORD_1 src1_sel:DWORD
	v_mul_f16_sdwa v2, v12, v23 dst_sel:DWORD dst_unused:UNUSED_PAD src0_sel:WORD_1 src1_sel:DWORD
	v_fma_f16 v1, v12, v23, v1
	v_fma_f16 v0, v12, v0, -v2
	v_pack_b32_f16 v0, v1, v0
	s_waitcnt vmcnt(12)
	v_lshrrev_b32_e32 v1, 16, v24
	v_mul_f16_sdwa v2, v13, v1 dst_sel:DWORD dst_unused:UNUSED_PAD src0_sel:WORD_1 src1_sel:DWORD
	v_mul_f16_sdwa v3, v13, v24 dst_sel:DWORD dst_unused:UNUSED_PAD src0_sel:WORD_1 src1_sel:DWORD
	v_fma_f16 v2, v13, v24, v2
	v_fma_f16 v1, v13, v1, -v3
	v_pack_b32_f16 v1, v2, v1
	v_add_u32_e32 v2, 0x600, v36
	ds_write2_b32 v2, v0, v1 offset0:64 offset1:176
	s_waitcnt vmcnt(11)
	v_lshrrev_b32_e32 v0, 16, v5
	v_mul_f16_sdwa v1, v15, v0 dst_sel:DWORD dst_unused:UNUSED_PAD src0_sel:WORD_1 src1_sel:DWORD
	v_mul_f16_sdwa v2, v15, v5 dst_sel:DWORD dst_unused:UNUSED_PAD src0_sel:WORD_1 src1_sel:DWORD
	v_fma_f16 v1, v15, v5, v1
	v_fma_f16 v0, v15, v0, -v2
	v_pack_b32_f16 v0, v1, v0
	s_waitcnt vmcnt(9)
	v_lshrrev_b32_e32 v1, 16, v22
	v_mul_f16_sdwa v2, v16, v1 dst_sel:DWORD dst_unused:UNUSED_PAD src0_sel:WORD_1 src1_sel:DWORD
	v_mul_f16_sdwa v3, v16, v22 dst_sel:DWORD dst_unused:UNUSED_PAD src0_sel:WORD_1 src1_sel:DWORD
	v_fma_f16 v2, v16, v22, v2
	v_fma_f16 v1, v16, v1, -v3
	v_pack_b32_f16 v1, v2, v1
	v_add_u32_e32 v2, 0xa00, v36
	ds_write2_b32 v2, v0, v1 offset0:32 offset1:144
	v_lshrrev_b32_e32 v0, 16, v6
	s_waitcnt vmcnt(7)
	v_mul_f16_sdwa v1, v27, v0 dst_sel:DWORD dst_unused:UNUSED_PAD src0_sel:WORD_1 src1_sel:DWORD
	v_mul_f16_sdwa v2, v27, v6 dst_sel:DWORD dst_unused:UNUSED_PAD src0_sel:WORD_1 src1_sel:DWORD
	v_fma_f16 v1, v27, v6, v1
	v_fma_f16 v0, v27, v0, -v2
	v_pack_b32_f16 v0, v1, v0
	v_lshrrev_b32_e32 v1, 16, v26
	s_waitcnt vmcnt(6)
	v_mul_f16_sdwa v2, v28, v1 dst_sel:DWORD dst_unused:UNUSED_PAD src0_sel:WORD_1 src1_sel:DWORD
	v_mul_f16_sdwa v3, v28, v26 dst_sel:DWORD dst_unused:UNUSED_PAD src0_sel:WORD_1 src1_sel:DWORD
	v_fma_f16 v2, v28, v26, v2
	v_fma_f16 v1, v28, v1, -v3
	v_pack_b32_f16 v1, v2, v1
	v_add_u32_e32 v2, 0xc00, v36
	ds_write2_b32 v2, v0, v1 offset0:128 offset1:240
	s_waitcnt vmcnt(5)
	v_lshrrev_b32_e32 v0, 16, v29
	s_waitcnt vmcnt(4)
	v_mul_f16_sdwa v1, v19, v0 dst_sel:DWORD dst_unused:UNUSED_PAD src0_sel:WORD_1 src1_sel:DWORD
	v_mul_f16_sdwa v2, v19, v29 dst_sel:DWORD dst_unused:UNUSED_PAD src0_sel:WORD_1 src1_sel:DWORD
	v_fma_f16 v1, v19, v29, v1
	v_fma_f16 v0, v19, v0, -v2
	v_pack_b32_f16 v0, v1, v0
	s_waitcnt vmcnt(3)
	v_lshrrev_b32_e32 v1, 16, v18
	s_waitcnt vmcnt(2)
	v_mul_f16_sdwa v2, v30, v1 dst_sel:DWORD dst_unused:UNUSED_PAD src0_sel:WORD_1 src1_sel:DWORD
	v_mul_f16_sdwa v3, v30, v18 dst_sel:DWORD dst_unused:UNUSED_PAD src0_sel:WORD_1 src1_sel:DWORD
	v_fma_f16 v2, v30, v18, v2
	v_fma_f16 v1, v30, v1, -v3
	v_pack_b32_f16 v1, v2, v1
	v_add_u32_e32 v2, 0x1000, v36
	ds_write2_b32 v2, v0, v1 offset0:96 offset1:208
	s_waitcnt vmcnt(1)
	v_lshrrev_b32_e32 v0, 16, v8
	s_waitcnt vmcnt(0)
	v_mul_f16_sdwa v1, v25, v0 dst_sel:DWORD dst_unused:UNUSED_PAD src0_sel:WORD_1 src1_sel:DWORD
	v_mul_f16_sdwa v2, v25, v8 dst_sel:DWORD dst_unused:UNUSED_PAD src0_sel:WORD_1 src1_sel:DWORD
	v_fma_f16 v1, v25, v8, v1
	v_fma_f16 v0, v25, v0, -v2
	v_pack_b32_f16 v0, v1, v0
	ds_write_b32 v36, v0 offset:5376
.LBB0_3:
	s_or_b64 exec, exec, s[14:15]
	s_load_dwordx2 s[2:3], s[4:5], 0x20
	s_load_dwordx2 s[14:15], s[4:5], 0x8
	v_mov_b32_e32 v0, 0
	s_waitcnt lgkmcnt(0)
	s_barrier
	s_waitcnt lgkmcnt(0)
                                        ; implicit-def: $vgpr12
                                        ; implicit-def: $vgpr11
                                        ; implicit-def: $vgpr9
                                        ; implicit-def: $vgpr7
                                        ; implicit-def: $vgpr5
                                        ; implicit-def: $vgpr3
	s_and_saveexec_b64 s[4:5], s[0:1]
	s_cbranch_execz .LBB0_5
; %bb.4:
	v_add_u32_e32 v2, 0x200, v36
	v_add_u32_e32 v4, 0x600, v36
	v_add_u32_e32 v6, 0xa00, v36
	v_add_u32_e32 v8, 0xc00, v36
	v_add_u32_e32 v10, 0x1000, v36
	ds_read2_b32 v[0:1], v36 offset1:112
	ds_read2_b32 v[2:3], v2 offset0:96 offset1:208
	ds_read2_b32 v[4:5], v4 offset0:64 offset1:176
	;; [unrolled: 1-line block ×5, first 2 shown]
	ds_read_b32 v12, v36 offset:5376
.LBB0_5:
	s_or_b64 exec, exec, s[4:5]
	s_waitcnt lgkmcnt(0)
	v_pk_add_f16 v15, v1, v12 neg_lo:[0,1] neg_hi:[0,1]
	s_mov_b32 s4, 0xbbf1
	v_pk_add_f16 v13, v12, v1
	s_movk_i32 s8, 0x2fb7
	v_mul_f16_sdwa v19, v15, s4 dst_sel:DWORD dst_unused:UNUSED_PAD src0_sel:WORD_1 src1_sel:DWORD
	s_mov_b32 s11, 0xbb7b
	v_fma_f16 v16, v13, s8, v19
	s_mov_b32 s9, 0xb5ac
	v_mul_f16_sdwa v28, v15, s11 dst_sel:DWORD dst_unused:UNUSED_PAD src0_sel:WORD_1 src1_sel:DWORD
	v_add_f16_e32 v18, v16, v0
	v_fma_f16 v16, v13, s9, v28
	v_pk_add_f16 v17, v2, v11 neg_lo:[0,1] neg_hi:[0,1]
	s_mov_b32 s17, 0xb3a8
	v_add_f16_e32 v20, v16, v0
	v_pk_add_f16 v16, v11, v2
	s_mov_b32 s16, 0xbbc4
	v_mul_f16_sdwa v29, v17, s17 dst_sel:DWORD dst_unused:UNUSED_PAD src0_sel:WORD_1 src1_sel:DWORD
	s_movk_i32 s5, 0x394e
	s_mov_b32 s10, 0xb9fd
	v_fma_f16 v21, v16, s16, v29
	v_mul_f16_sdwa v40, v17, s5 dst_sel:DWORD dst_unused:UNUSED_PAD src0_sel:WORD_1 src1_sel:DWORD
	v_add_f16_e32 v21, v21, v18
	v_fma_f16 v18, v16, s10, v40
	s_movk_i32 s5, 0x3b7b
	v_pk_add_f16 v25, v3, v10 neg_lo:[0,1] neg_hi:[0,1]
	v_add_f16_e32 v20, v18, v20
	v_pk_add_f16 v18, v10, v3
	v_mul_f16_sdwa v42, v25, s5 dst_sel:DWORD dst_unused:UNUSED_PAD src0_sel:WORD_1 src1_sel:DWORD
	s_movk_i32 s19, 0x3770
	v_fma_f16 v22, v18, s9, v42
	s_movk_i32 s18, 0x3b15
	v_mul_f16_sdwa v44, v25, s19 dst_sel:DWORD dst_unused:UNUSED_PAD src0_sel:WORD_1 src1_sel:DWORD
	v_pk_add_f16 v27, v4, v9 neg_lo:[0,1] neg_hi:[0,1]
	v_add_f16_e32 v21, v22, v21
	v_fma_f16 v22, v18, s18, v44
	v_pk_add_f16 v26, v9, v4
	v_mul_f16_sdwa v45, v27, s19 dst_sel:DWORD dst_unused:UNUSED_PAD src0_sel:WORD_1 src1_sel:DWORD
	v_add_f16_e32 v20, v22, v20
	v_fma_f16 v22, v26, s18, v45
	v_mul_f16_sdwa v46, v27, s4 dst_sel:DWORD dst_unused:UNUSED_PAD src0_sel:WORD_1 src1_sel:DWORD
	s_mov_b32 s5, 0xba95
	v_pk_add_f16 v39, v5, v8 neg_lo:[0,1] neg_hi:[0,1]
	v_add_f16_e32 v21, v22, v21
	v_fma_f16 v22, v26, s8, v46
	s_movk_i32 s20, 0x388b
	v_pk_add_f16 v30, v8, v5
	v_mul_f16_sdwa v47, v39, s5 dst_sel:DWORD dst_unused:UNUSED_PAD src0_sel:WORD_1 src1_sel:DWORD
	s_movk_i32 s24, 0x33a8
	v_add_f16_e32 v20, v22, v20
	v_fma_f16 v22, v30, s20, v47
	v_mul_f16_sdwa v48, v39, s24 dst_sel:DWORD dst_unused:UNUSED_PAD src0_sel:WORD_1 src1_sel:DWORD
	s_mov_b32 s21, 0xb94e
	v_pk_add_f16 v43, v6, v7 neg_lo:[0,1] neg_hi:[0,1]
	v_add_f16_e32 v21, v22, v21
	v_fma_f16 v22, v30, s16, v48
	v_pk_add_f16 v41, v7, v6
	v_mul_f16_sdwa v51, v43, s21 dst_sel:DWORD dst_unused:UNUSED_PAD src0_sel:WORD_1 src1_sel:DWORD
	s_movk_i32 s22, 0x3a95
	v_add_f16_e32 v20, v22, v20
	v_fma_f16 v22, v41, s10, v51
	v_mul_f16_sdwa v55, v43, s22 dst_sel:DWORD dst_unused:UNUSED_PAD src0_sel:WORD_1 src1_sel:DWORD
	s_mov_b32 s23, 0xb770
	v_add_f16_e32 v22, v22, v21
	v_fma_f16 v21, v41, s20, v55
	v_mul_f16_sdwa v49, v15, s23 dst_sel:DWORD dst_unused:UNUSED_PAD src0_sel:WORD_1 src1_sel:DWORD
	v_add_f16_e32 v21, v21, v20
	v_fma_f16 v20, v13, s18, v49
	v_mul_f16_sdwa v50, v17, s5 dst_sel:DWORD dst_unused:UNUSED_PAD src0_sel:WORD_1 src1_sel:DWORD
	v_add_f16_e32 v20, v20, v0
	v_fma_f16 v23, v16, s20, v50
	v_lshrrev_b32_e32 v98, 16, v13
	v_mul_f16_e32 v52, 0xba95, v15
	v_add_f16_e32 v20, v23, v20
	v_fma_f16 v23, v98, s20, -v52
	v_lshrrev_b32_e32 v93, 16, v16
	v_mul_f16_e32 v53, 0xbb7b, v17
	v_add_f16_sdwa v23, v23, v0 dst_sel:DWORD dst_unused:UNUSED_PAD src0_sel:DWORD src1_sel:WORD_1
	v_fma_f16 v24, v93, s9, -v53
	v_mul_f16_e32 v57, 0xbbf1, v15
	v_add_f16_e32 v23, v24, v23
	v_fma_f16 v24, v98, s8, -v57
	v_mul_f16_e32 v58, 0xb3a8, v17
	v_add_f16_sdwa v24, v24, v0 dst_sel:DWORD dst_unused:UNUSED_PAD src0_sel:DWORD src1_sel:WORD_1
	v_fma_f16 v31, v93, s16, -v58
	v_mul_f16_e32 v63, 0xbb7b, v15
	v_add_f16_e32 v24, v31, v24
	v_fma_f16 v31, v98, s9, -v63
	v_mul_f16_e32 v64, 0x394e, v17
	v_add_f16_sdwa v31, v31, v0 dst_sel:DWORD dst_unused:UNUSED_PAD src0_sel:DWORD src1_sel:WORD_1
	v_fma_f16 v32, v93, s10, -v64
	v_mul_f16_sdwa v70, v15, s21 dst_sel:DWORD dst_unused:UNUSED_PAD src0_sel:WORD_1 src1_sel:DWORD
	s_movk_i32 s23, 0x3bf1
	v_add_f16_e32 v31, v32, v31
	v_fma_f16 v32, v13, s10, v70
	v_mul_f16_sdwa v73, v17, s23 dst_sel:DWORD dst_unused:UNUSED_PAD src0_sel:WORD_1 src1_sel:DWORD
	v_add_f16_e32 v32, v32, v0
	v_fma_f16 v33, v16, s8, v73
	v_mul_f16_e32 v90, 0xb94e, v15
	v_add_f16_e32 v32, v33, v32
	v_fma_f16 v33, v98, s10, -v90
	v_mul_f16_e32 v84, 0x3bf1, v17
	v_add_f16_sdwa v33, v33, v0 dst_sel:DWORD dst_unused:UNUSED_PAD src0_sel:DWORD src1_sel:WORD_1
	v_fma_f16 v34, v93, s8, -v84
	v_mul_f16_sdwa v54, v25, s4 dst_sel:DWORD dst_unused:UNUSED_PAD src0_sel:WORD_1 src1_sel:DWORD
	v_add_f16_e32 v33, v34, v33
	v_fma_f16 v34, v18, s8, v54
	v_lshrrev_b32_e32 v91, 16, v18
	v_mul_f16_e32 v59, 0xb3a8, v25
	v_add_f16_e32 v20, v34, v20
	v_fma_f16 v34, v91, s16, -v59
	v_mul_f16_e32 v62, 0x3b7b, v25
	v_add_f16_e32 v23, v34, v23
	v_fma_f16 v34, v91, s9, -v62
	v_mul_f16_e32 v68, 0x3770, v25
	v_add_f16_e32 v24, v34, v24
	v_fma_f16 v34, v91, s18, -v68
	v_mul_f16_sdwa v79, v25, s5 dst_sel:DWORD dst_unused:UNUSED_PAD src0_sel:WORD_1 src1_sel:DWORD
	v_add_f16_e32 v31, v34, v31
	v_fma_f16 v34, v18, s20, v79
	v_mul_f16_e32 v95, 0xba95, v25
	v_add_f16_e32 v32, v34, v32
	v_fma_f16 v34, v91, s20, -v95
	v_mul_f16_sdwa v56, v27, s11 dst_sel:DWORD dst_unused:UNUSED_PAD src0_sel:WORD_1 src1_sel:DWORD
	v_add_f16_e32 v33, v34, v33
	v_fma_f16 v34, v26, s9, v56
	v_lshrrev_b32_e32 v92, 16, v26
	v_mul_f16_e32 v61, 0x394e, v27
	v_add_f16_e32 v20, v34, v20
	v_fma_f16 v34, v92, s10, -v61
	v_mul_f16_e32 v67, 0x3770, v27
	v_add_f16_e32 v23, v34, v23
	v_fma_f16 v34, v92, s18, -v67
	v_mul_f16_e32 v78, 0xbbf1, v27
	v_add_f16_e32 v24, v34, v24
	v_fma_f16 v34, v92, s8, -v78
	v_mul_f16_sdwa v87, v27, s24 dst_sel:DWORD dst_unused:UNUSED_PAD src0_sel:WORD_1 src1_sel:DWORD
	v_add_f16_e32 v31, v34, v31
	v_fma_f16 v34, v26, s16, v87
	v_mul_f16_e32 v99, 0x33a8, v27
	v_add_f16_e32 v32, v34, v32
	;; [unrolled: 19-line block ×3, first 2 shown]
	v_fma_f16 v23, v94, s18, -v101
	v_mul_f16_sdwa v66, v43, s17 dst_sel:DWORD dst_unused:UNUSED_PAD src0_sel:WORD_1 src1_sel:DWORD
	v_lshrrev_b32_e32 v102, 16, v41
	v_mul_f16_e32 v80, 0x3770, v43
	v_add_f16_e32 v82, v23, v33
	s_mov_b32 s4, 0x3b15388b
	v_fma_f16 v23, v41, s16, v66
	v_fma_f16 v31, v102, s18, -v80
	v_mul_f16_e32 v104, 0xbb7b, v43
	s_mov_b32 s5, 0xba95b770
	s_mov_b32 s24, 0x388bb5ac
	v_add_f16_e32 v24, v23, v20
	v_pk_mul_f16 v20, v13, s4
	v_add_f16_e32 v31, v31, v34
	v_fma_f16 v34, v102, s9, -v104
	s_mov_b32 s25, 0xbb7bba95
	s_mov_b32 s26, 0x2fb7bbc4
	v_pk_mul_f16 v83, v16, s24
	v_add_f16_e32 v34, v34, v82
	v_pk_fma_f16 v82, v15, s5, v20 op_sel:[0,0,1] op_sel_hi:[1,1,0] neg_lo:[1,0,0] neg_hi:[1,0,0]
	s_mov_b32 s27, 0xb3a8bbf1
	s_mov_b32 s28, 0xb5acb9fd
	v_pk_fma_f16 v69, v15, s5, v20 op_sel:[0,0,1] op_sel_hi:[1,1,0]
	v_pk_fma_f16 v71, v17, s25, v83 op_sel:[0,0,1] op_sel_hi:[1,1,0]
	v_pk_mul_f16 v85, v18, s26
	v_pk_fma_f16 v83, v17, s25, v83 op_sel:[0,0,1] op_sel_hi:[1,1,0] neg_lo:[1,0,0] neg_hi:[1,0,0]
	v_add_f16_sdwa v20, v82, v0 dst_sel:DWORD dst_unused:UNUSED_PAD src0_sel:DWORD src1_sel:WORD_1
	s_mov_b32 s29, 0x394ebb7b
	s_mov_b32 s30, 0xb9fd2fb7
	v_add_f16_sdwa v23, v69, v0 dst_sel:DWORD dst_unused:UNUSED_PAD src0_sel:WORD_1 src1_sel:DWORD
	v_pk_fma_f16 v74, v25, s27, v85 op_sel:[0,0,1] op_sel_hi:[1,1,0]
	v_pk_mul_f16 v86, v26, s28
	v_pk_fma_f16 v85, v25, s27, v85 op_sel:[0,0,1] op_sel_hi:[1,1,0] neg_lo:[1,0,0] neg_hi:[1,0,0]
	v_add_f16_e32 v20, v83, v20
	s_mov_b32 s31, 0x3bf1b94e
	s_mov_b32 s33, 0xbbc43b15
	v_add_f16_sdwa v23, v71, v23 dst_sel:DWORD dst_unused:UNUSED_PAD src0_sel:WORD_1 src1_sel:DWORD
	v_pk_fma_f16 v75, v27, s29, v86 op_sel:[0,0,1] op_sel_hi:[1,1,0]
	v_pk_mul_f16 v88, v30, s30
	v_pk_fma_f16 v86, v27, s29, v86 op_sel:[0,0,1] op_sel_hi:[1,1,0] neg_lo:[1,0,0] neg_hi:[1,0,0]
	v_add_f16_e32 v20, v85, v20
	s_mov_b32 s34, 0x3770b3a8
	v_add_f16_sdwa v23, v74, v23 dst_sel:DWORD dst_unused:UNUSED_PAD src0_sel:WORD_1 src1_sel:DWORD
	v_pk_fma_f16 v76, v39, s31, v88 op_sel:[0,0,1] op_sel_hi:[1,1,0]
	v_pk_mul_f16 v89, v41, s33
	v_mul_f16_e32 v97, 0xb94e, v43
	v_pk_fma_f16 v88, v39, s31, v88 op_sel:[0,0,1] op_sel_hi:[1,1,0] neg_lo:[1,0,0] neg_hi:[1,0,0]
	v_add_f16_e32 v20, v86, v20
	v_add_f16_sdwa v23, v75, v23 dst_sel:DWORD dst_unused:UNUSED_PAD src0_sel:WORD_1 src1_sel:DWORD
	v_pk_fma_f16 v77, v43, s34, v89 op_sel:[0,0,1] op_sel_hi:[1,1,0]
	v_fma_f16 v32, v102, s10, -v97
	v_mul_f16_e32 v100, 0x3a95, v43
	v_pk_fma_f16 v89, v43, s34, v89 op_sel:[0,0,1] op_sel_hi:[1,1,0] neg_lo:[1,0,0] neg_hi:[1,0,0]
	v_add_f16_e32 v20, v88, v20
	v_mul_f16_sdwa v103, v43, s11 dst_sel:DWORD dst_unused:UNUSED_PAD src0_sel:WORD_1 src1_sel:DWORD
	v_add_f16_sdwa v23, v76, v23 dst_sel:DWORD dst_unused:UNUSED_PAD src0_sel:WORD_1 src1_sel:DWORD
	v_add_f16_e32 v32, v32, v35
	v_fma_f16 v33, v102, s20, -v100
	v_add_f16_e32 v35, v89, v20
	v_fma_f16 v20, v41, s9, v103
	v_add_f16_sdwa v23, v77, v23 dst_sel:DWORD dst_unused:UNUSED_PAD src0_sel:WORD_1 src1_sel:DWORD
	v_add_f16_e32 v33, v33, v38
	v_add_f16_e32 v20, v20, v105
	v_mul_lo_u16_e32 v38, 13, v37
	s_barrier
	s_and_saveexec_b64 s[4:5], s[0:1]
	s_cbranch_execz .LBB0_7
; %bb.6:
	v_mul_f16_e32 v107, 0x388b, v98
	v_mul_f16_e32 v109, 0x2fb7, v98
	;; [unrolled: 1-line block ×8, first 2 shown]
	v_add_f16_e32 v90, v90, v98
	v_mul_f16_e32 v121, 0xbbc4, v91
	v_mul_f16_e32 v123, 0xb5ac, v91
	;; [unrolled: 1-line block ×4, first 2 shown]
	v_add_f16_e32 v84, v84, v93
	v_add_f16_sdwa v90, v90, v0 dst_sel:DWORD dst_unused:UNUSED_PAD src0_sel:DWORD src1_sel:WORD_1
	v_add_f16_e32 v84, v84, v90
	v_add_f16_e32 v91, v95, v91
	v_add_f16_e32 v84, v91, v84
	v_mul_f16_e32 v91, 0xbbc4, v92
	v_add_f16_e32 v91, v99, v91
	v_mul_f16_e32 v112, 0xb9fd, v13
	v_add_f16_e32 v84, v91, v84
	v_mul_f16_e32 v91, 0x3b15, v94
	v_mul_f16_e32 v119, 0x2fb7, v16
	v_add_f16_e32 v91, v101, v91
	v_sub_f16_e32 v70, v112, v70
	v_mul_f16_e32 v98, 0x388b, v18
	v_add_f16_e32 v84, v91, v84
	v_mul_f16_e32 v91, 0xb5ac, v102
	v_sub_f16_e32 v73, v119, v73
	v_add_f16_e32 v70, v70, v0
	v_mul_f16_e32 v108, 0x2fb7, v13
	v_mul_f16_e32 v110, 0xb5ac, v13
	v_add_f16_e32 v91, v104, v91
	v_mul_f16_e32 v104, 0xbbc4, v26
	v_add_f16_e32 v70, v73, v70
	v_sub_f16_e32 v79, v98, v79
	v_alignbit_b32 v105, v0, v0, 16
	v_mul_f16_e32 v115, 0xbbc4, v16
	v_mul_f16_e32 v117, 0xb9fd, v16
	v_add_f16_e32 v70, v79, v70
	v_mul_f16_e32 v79, 0x3b15, v30
	v_sub_f16_e32 v87, v104, v87
	v_sub_f16_e32 v28, v110, v28
	;; [unrolled: 1-line block ×3, first 2 shown]
	v_mul_f16_e32 v122, 0xb5ac, v18
	v_mul_f16_e32 v124, 0x3b15, v18
	v_add_f16_e32 v70, v87, v70
	v_sub_f16_e32 v79, v79, v96
	v_add_f16_e32 v28, v28, v0
	v_sub_f16_e32 v40, v117, v40
	v_add_f16_e32 v19, v19, v0
	v_sub_f16_e32 v29, v115, v29
	v_pk_add_f16 v1, v1, v105 op_sel:[0,1] op_sel_hi:[1,0]
	v_mul_f16_e32 v95, 0x3b15, v26
	v_mul_f16_e32 v101, 0x2fb7, v26
	v_add_f16_e32 v70, v79, v70
	v_mul_f16_e32 v79, 0xb5ac, v41
	v_add_f16_e32 v28, v40, v28
	v_sub_f16_e32 v40, v124, v44
	v_add_f16_e32 v19, v29, v19
	v_sub_f16_e32 v29, v122, v42
	v_pk_add_f16 v1, v2, v1
	v_mul_f16_e32 v119, 0x388b, v30
	v_mul_f16_e32 v98, 0xbbc4, v30
	v_sub_f16_e32 v79, v79, v103
	v_add_f16_e32 v28, v40, v28
	v_sub_f16_e32 v40, v101, v46
	v_add_f16_e32 v19, v29, v19
	v_sub_f16_e32 v29, v95, v45
	v_pk_add_f16 v1, v3, v1
	v_mul_f16_e32 v96, 0xb9fd, v41
	v_add_f16_e32 v70, v79, v70
	v_mul_f16_e32 v79, 0x388b, v41
	v_add_f16_e32 v28, v40, v28
	v_sub_f16_e32 v40, v98, v48
	v_add_f16_e32 v19, v29, v19
	v_sub_f16_e32 v29, v119, v47
	v_pk_add_f16 v1, v4, v1
	v_mul_f16_e32 v106, 0x3b15, v13
	v_add_f16_e32 v28, v40, v28
	v_sub_f16_e32 v40, v79, v55
	v_add_f16_e32 v19, v29, v19
	v_sub_f16_e32 v29, v96, v51
	v_pk_add_f16 v1, v5, v1
	v_mul_f16_e32 v113, 0x388b, v16
	v_add_f16_e32 v63, v63, v111
	v_add_f16_e32 v28, v40, v28
	;; [unrolled: 1-line block ×5, first 2 shown]
	v_sub_f16_e32 v49, v106, v49
	v_pk_add_f16 v1, v6, v1
	v_mul_f16_e32 v120, 0x2fb7, v18
	v_add_f16_sdwa v63, v63, v0 dst_sel:DWORD dst_unused:UNUSED_PAD src0_sel:DWORD src1_sel:WORD_1
	v_add_f16_sdwa v40, v40, v0 dst_sel:DWORD dst_unused:UNUSED_PAD src0_sel:DWORD src1_sel:WORD_1
	;; [unrolled: 1-line block ×3, first 2 shown]
	v_add_f16_e32 v42, v53, v114
	v_add_f16_e32 v0, v49, v0
	v_sub_f16_e32 v49, v113, v50
	v_pk_add_f16 v1, v7, v1
	v_mul_f16_e32 v93, 0xb5ac, v26
	v_mul_f16_e32 v90, 0xb9fd, v92
	v_add_f16_e32 v44, v58, v116
	v_add_f16_e32 v29, v42, v29
	;; [unrolled: 1-line block ×4, first 2 shown]
	v_sub_f16_e32 v49, v120, v54
	v_pk_add_f16 v1, v8, v1
	v_mul_f16_e32 v99, 0x3b15, v92
	v_add_f16_e32 v84, v91, v84
	v_mul_f16_e32 v91, 0xb9fd, v30
	v_mul_f16_e32 v112, 0x2fb7, v94
	v_add_f16_e32 v40, v44, v40
	v_add_f16_e32 v44, v62, v123
	v_add_f16_e32 v29, v42, v29
	v_add_f16_e32 v42, v61, v90
	v_add_f16_e32 v0, v49, v0
	v_sub_f16_e32 v49, v93, v56
	v_pk_add_f16 v1, v9, v1
	v_mul_f16_e32 v73, 0x388b, v94
	v_mul_f16_e32 v104, 0xbbc4, v41
	;; [unrolled: 1-line block ×3, first 2 shown]
	v_add_f16_e32 v40, v44, v40
	v_add_f16_e32 v44, v67, v99
	v_add_f16_e32 v29, v42, v29
	v_add_f16_e32 v42, v65, v112
	v_add_f16_e32 v0, v49, v0
	v_sub_f16_e32 v49, v91, v60
	v_pk_add_f16 v1, v10, v1
	v_mul_f16_e32 v103, 0xb9fd, v102
	v_add_f16_e32 v40, v44, v40
	v_add_f16_e32 v44, v72, v73
	v_add_f16_e32 v29, v42, v29
	v_add_f16_e32 v42, v80, v87
	s_mov_b32 s24, 0xffff
	v_add_f16_e32 v0, v49, v0
	v_sub_f16_e32 v49, v104, v66
	v_pk_add_f16 v1, v11, v1
	v_add_f16_e32 v40, v44, v40
	v_add_f16_e32 v44, v97, v103
	;; [unrolled: 1-line block ×3, first 2 shown]
	v_bfi_b32 v42, s24, v69, v82
	v_add_f16_e32 v0, v49, v0
	v_lshlrev_b32_e32 v49, 2, v38
	v_pk_add_f16 v1, v12, v1
	v_add_f16_e32 v40, v44, v40
	v_bfi_b32 v44, s24, v71, v83
	ds_write_b32 v49, v1
	v_pk_add_f16 v1, v42, v105
	v_add_f16_e32 v64, v64, v118
	v_bfi_b32 v45, s24, v74, v85
	v_pk_add_f16 v1, v44, v1
	v_mul_f16_e32 v92, 0x2fb7, v92
	v_add_f16_e32 v63, v64, v63
	v_add_f16_e32 v64, v68, v125
	v_bfi_b32 v46, s24, v75, v86
	v_pk_add_f16 v1, v45, v1
	v_mul_f16_e32 v94, 0xbbc4, v94
	v_add_f16_e32 v63, v64, v63
	;; [unrolled: 5-line block ×3, first 2 shown]
	v_add_f16_e32 v64, v81, v94
	v_bfi_b32 v48, s24, v77, v89
	v_pk_add_f16 v1, v47, v1
	v_add_f16_e32 v63, v64, v63
	v_add_f16_e32 v64, v100, v102
	v_pk_add_f16 v1, v48, v1
	v_add_f16_e32 v63, v64, v63
	v_alignbit_b32 v2, v29, v1, 16
	v_pack_b32_f16 v0, v0, v1
	ds_write2_b32 v49, v0, v2 offset0:1 offset1:2
	v_pack_b32_f16 v0, v28, v63
	v_pack_b32_f16 v1, v19, v40
	ds_write2_b32 v49, v1, v0 offset0:3 offset1:4
	v_pk_mul_f16 v0, v15, s17 op_sel_hi:[1,0]
	v_pk_mul_f16 v1, v17, s19 op_sel_hi:[1,0]
	v_pk_fma_f16 v6, v13, s16, v0 op_sel:[0,0,1] op_sel_hi:[1,0,0] neg_lo:[0,0,1] neg_hi:[0,0,1]
	v_pk_fma_f16 v0, v13, s16, v0 op_sel:[0,0,1] op_sel_hi:[1,0,0]
	v_bfi_b32 v7, s24, v6, v0
	v_pk_fma_f16 v8, v16, s18, v1 op_sel:[0,0,1] op_sel_hi:[1,0,0] neg_lo:[0,0,1] neg_hi:[0,0,1]
	v_pk_fma_f16 v1, v16, s18, v1 op_sel:[0,0,1] op_sel_hi:[1,0,0]
	v_pk_mul_f16 v2, v25, s21 op_sel_hi:[1,0]
	v_pk_add_f16 v7, v7, v105 op_sel:[0,1] op_sel_hi:[1,0]
	v_bfi_b32 v9, s24, v8, v1
	v_pk_add_f16 v7, v9, v7
	v_pk_fma_f16 v9, v18, s10, v2 op_sel:[0,0,1] op_sel_hi:[1,0,0] neg_lo:[0,0,1] neg_hi:[0,0,1]
	v_pk_fma_f16 v2, v18, s10, v2 op_sel:[0,0,1] op_sel_hi:[1,0,0]
	v_pk_mul_f16 v3, v27, s22 op_sel_hi:[1,0]
	v_bfi_b32 v10, s24, v9, v2
	v_pk_add_f16 v7, v10, v7
	v_pk_fma_f16 v10, v26, s20, v3 op_sel:[0,0,1] op_sel_hi:[1,0,0] neg_lo:[0,0,1] neg_hi:[0,0,1]
	v_pk_fma_f16 v3, v26, s20, v3 op_sel:[0,0,1] op_sel_hi:[1,0,0]
	v_bfi_b32 v0, s24, v0, v6
	v_pk_mul_f16 v4, v39, s11 op_sel_hi:[1,0]
	v_bfi_b32 v11, s24, v10, v3
	v_pk_add_f16 v0, v0, v105 op_sel:[0,1] op_sel_hi:[1,0]
	v_bfi_b32 v1, s24, v1, v8
	v_pk_add_f16 v7, v11, v7
	v_pk_fma_f16 v11, v30, s9, v4 op_sel:[0,0,1] op_sel_hi:[1,0,0] neg_lo:[0,0,1] neg_hi:[0,0,1]
	v_pk_fma_f16 v4, v30, s9, v4 op_sel:[0,0,1] op_sel_hi:[1,0,0]
	v_pk_add_f16 v0, v1, v0
	v_bfi_b32 v1, s24, v2, v9
	v_pk_mul_f16 v5, v43, s23 op_sel_hi:[1,0]
	v_bfi_b32 v12, s24, v11, v4
	v_pk_add_f16 v0, v1, v0
	v_bfi_b32 v1, s24, v3, v10
	v_pk_add_f16 v7, v12, v7
	v_pk_fma_f16 v12, v41, s8, v5 op_sel:[0,0,1] op_sel_hi:[1,0,0] neg_lo:[0,0,1] neg_hi:[0,0,1]
	v_pk_fma_f16 v5, v41, s8, v5 op_sel:[0,0,1] op_sel_hi:[1,0,0]
	v_pk_add_f16 v0, v1, v0
	v_bfi_b32 v1, s24, v4, v11
	v_pk_add_f16 v0, v1, v0
	v_bfi_b32 v1, s24, v5, v12
	s_mov_b32 s8, 0x5040100
	v_pk_add_f16 v0, v1, v0
	v_perm_b32 v1, v34, v20, s8
	v_bfi_b32 v13, s24, v12, v5
	ds_write2_b32 v49, v0, v1 offset0:7 offset1:8
	v_perm_b32 v0, v32, v22, s8
	v_perm_b32 v1, v33, v21, s8
	v_pk_add_f16 v7, v13, v7
	v_pack_b32_f16 v13, v70, v84
	ds_write2_b32 v49, v1, v0 offset0:9 offset1:10
	v_perm_b32 v0, v35, v24, s8
	v_perm_b32 v1, v31, v23, s8
	ds_write2_b32 v49, v13, v7 offset0:5 offset1:6
	ds_write2_b32 v49, v1, v0 offset0:11 offset1:12
.LBB0_7:
	s_or_b64 exec, exec, s[4:5]
	s_load_dwordx4 s[8:11], s[2:3], 0x0
	s_movk_i32 s2, 0x4f
	v_mul_lo_u16_sdwa v4, v37, s2 dst_sel:DWORD dst_unused:UNUSED_PAD src0_sel:BYTE_0 src1_sel:DWORD
	v_lshrrev_b16_e32 v7, 10, v4
	v_mul_lo_u16_e32 v0, 13, v7
	v_sub_u16_e32 v0, v37, v0
	v_and_b32_e32 v25, 0xff, v0
	v_mad_u64_u32 v[0:1], s[2:3], v25, 12, s[14:15]
	s_waitcnt lgkmcnt(0)
	s_barrier
	global_load_dwordx3 v[8:10], v[0:1], off
	v_add_u16_e32 v0, 0xb6, v37
	v_mul_u32_u24_e32 v1, 0x4ec5, v0
	v_lshrrev_b32_e32 v26, 18, v1
	v_mul_lo_u16_e32 v2, 13, v26
	v_sub_u16_e32 v27, v0, v2
	v_mul_lo_u16_e32 v2, 12, v27
	v_mov_b32_e32 v3, s15
	v_add_co_u32_e32 v2, vcc, s14, v2
	v_addc_co_u32_e32 v3, vcc, 0, v3, vcc
	global_load_dwordx3 v[11:13], v[2:3], off
	v_add_u32_e32 v5, 0x500, v36
	v_add_u32_e32 v15, 0xb00, v36
	;; [unrolled: 1-line block ×3, first 2 shown]
	ds_read2_b32 v[2:3], v36 offset1:182
	ds_read2_b32 v[5:6], v5 offset0:44 offset1:226
	ds_read2_b32 v[15:16], v15 offset0:24 offset1:206
	;; [unrolled: 1-line block ×3, first 2 shown]
	v_mul_u32_u24_e32 v7, 52, v7
	s_waitcnt lgkmcnt(0)
	v_lshrrev_b32_e32 v29, 16, v5
	v_lshrrev_b32_e32 v30, 16, v15
	;; [unrolled: 1-line block ×8, first 2 shown]
	s_waitcnt vmcnt(0)
	s_barrier
	v_cmp_gt_u16_e64 s[2:3], 26, v37
	v_mul_f16_sdwa v43, v29, v8 dst_sel:DWORD dst_unused:UNUSED_PAD src0_sel:DWORD src1_sel:WORD_1
	v_mul_f16_sdwa v44, v5, v8 dst_sel:DWORD dst_unused:UNUSED_PAD src0_sel:DWORD src1_sel:WORD_1
	;; [unrolled: 1-line block ×6, first 2 shown]
	v_fma_f16 v5, v5, v8, -v43
	v_fma_f16 v29, v29, v8, v44
	v_fma_f16 v15, v15, v9, -v45
	v_fma_f16 v30, v30, v9, v46
	;; [unrolled: 2-line block ×3, first 2 shown]
	v_mul_f16_sdwa v49, v40, v11 dst_sel:DWORD dst_unused:UNUSED_PAD src0_sel:DWORD src1_sel:WORD_1
	v_mul_f16_sdwa v50, v6, v11 dst_sel:DWORD dst_unused:UNUSED_PAD src0_sel:DWORD src1_sel:WORD_1
	;; [unrolled: 1-line block ×6, first 2 shown]
	v_fma_f16 v6, v6, v11, -v49
	v_fma_f16 v40, v40, v11, v50
	v_fma_f16 v16, v16, v12, -v51
	v_fma_f16 v41, v41, v12, v52
	;; [unrolled: 2-line block ×3, first 2 shown]
	v_sub_f16_e32 v15, v2, v15
	v_sub_f16_e32 v30, v19, v30
	;; [unrolled: 1-line block ×8, first 2 shown]
	v_fma_f16 v2, v2, 2.0, -v15
	v_fma_f16 v42, v19, 2.0, -v30
	;; [unrolled: 1-line block ×4, first 2 shown]
	v_sub_f16_e32 v44, v15, v39
	v_add_f16_e32 v17, v30, v17
	v_fma_f16 v6, v6, 2.0, -v18
	v_fma_f16 v39, v40, 2.0, -v41
	v_sub_f16_e32 v19, v16, v41
	v_add_f16_e32 v41, v43, v18
	v_sub_f16_e32 v5, v2, v5
	v_sub_f16_e32 v18, v42, v29
	v_fma_f16 v28, v28, 2.0, -v43
	v_fma_f16 v15, v15, 2.0, -v44
	;; [unrolled: 1-line block ×6, first 2 shown]
	v_sub_f16_e32 v30, v28, v39
	v_add_lshl_u32 v39, v7, v25, 2
	v_pack_b32_f16 v2, v2, v40
	v_pack_b32_f16 v7, v15, v29
	v_sub_f16_e32 v6, v3, v6
	ds_write2_b32 v39, v2, v7 offset1:13
	v_pack_b32_f16 v2, v5, v18
	v_pack_b32_f16 v5, v44, v17
	v_fma_f16 v16, v16, 2.0, -v19
	v_fma_f16 v43, v43, 2.0, -v41
	;; [unrolled: 1-line block ×4, first 2 shown]
	ds_write2_b32 v39, v2, v5 offset0:26 offset1:39
	v_mad_legacy_u16 v2, v26, 52, v27
	v_lshlrev_b32_e32 v40, 2, v2
	v_pack_b32_f16 v2, v3, v28
	v_pack_b32_f16 v3, v16, v43
	ds_write2_b32 v40, v2, v3 offset1:13
	v_pack_b32_f16 v2, v6, v30
	v_pack_b32_f16 v3, v19, v41
	ds_write2_b32 v40, v2, v3 offset0:26 offset1:39
	v_add_u32_e32 v2, 0x600, v36
	s_waitcnt lgkmcnt(0)
	s_barrier
	ds_read2_b32 v[27:28], v2 offset0:32 offset1:240
	v_add_u32_e32 v2, 0xd00, v36
	ds_read2_b32 v[25:26], v36 offset1:208
	ds_read2_b32 v[29:30], v2 offset1:208
	ds_read_b32 v42, v36 offset:4992
                                        ; implicit-def: $vgpr43
                                        ; implicit-def: $vgpr44
	s_and_saveexec_b64 s[4:5], s[2:3]
	s_cbranch_execz .LBB0_9
; %bb.8:
	v_add_u32_e32 v2, 0x280, v36
	ds_read2_b32 v[19:20], v2 offset0:22 offset1:230
	v_add_u32_e32 v2, 0x900, v36
	v_add_u32_e32 v3, 0xf80, v36
	ds_read2_b32 v[21:22], v2 offset0:22 offset1:230
	ds_read2_b32 v[23:24], v3 offset0:22 offset1:230
	ds_read_b32 v43, v36 offset:5720
	s_waitcnt lgkmcnt(3)
	v_lshrrev_b32_e32 v41, 16, v19
	v_lshrrev_b32_e32 v34, 16, v20
	s_waitcnt lgkmcnt(2)
	v_lshrrev_b32_e32 v33, 16, v21
	v_lshrrev_b32_e32 v32, 16, v22
	;; [unrolled: 3-line block ×3, first 2 shown]
	s_waitcnt lgkmcnt(0)
	v_lshrrev_b32_e32 v44, 16, v43
.LBB0_9:
	s_or_b64 exec, exec, s[4:5]
	v_lshrrev_b16_e32 v50, 12, v4
	v_lshrrev_b32_e32 v1, 20, v1
	v_mul_lo_u16_e32 v4, 52, v50
	v_mul_lo_u16_e32 v1, 52, v1
	v_sub_u16_e32 v4, v37, v4
	v_sub_u16_e32 v47, v0, v1
	v_and_b32_e32 v57, 0xff, v4
	v_mul_lo_u16_e32 v0, 24, v47
	v_mad_u64_u32 v[45:46], s[4:5], v57, 24, s[14:15]
	v_mov_b32_e32 v1, s15
	v_add_co_u32_e32 v5, vcc, s14, v0
	v_addc_co_u32_e32 v6, vcc, 0, v1, vcc
	global_load_dwordx4 v[0:3], v[5:6], off offset:156
	global_load_dwordx2 v[15:16], v[5:6], off offset:172
	s_nop 0
	global_load_dwordx4 v[4:7], v[45:46], off offset:156
	global_load_dwordx2 v[17:18], v[45:46], off offset:172
	s_waitcnt lgkmcnt(2)
	v_lshrrev_b32_e32 v45, 16, v26
	v_lshrrev_b32_e32 v46, 16, v27
	s_waitcnt lgkmcnt(1)
	v_lshrrev_b32_e32 v51, 16, v30
	s_waitcnt lgkmcnt(0)
	v_lshrrev_b32_e32 v52, 16, v42
	v_lshrrev_b32_e32 v48, 16, v28
	;; [unrolled: 1-line block ×3, first 2 shown]
	s_movk_i32 s4, 0x2b26
	s_movk_i32 s5, 0x3b00
	s_mov_b32 s16, 0xbcab
	s_movk_i32 s17, 0x39e0
	s_mov_b32 s18, 0xb9e0
	;; [unrolled: 2-line block ×3, first 2 shown]
	s_movk_i32 s21, 0x370e
	s_waitcnt vmcnt(0)
	s_barrier
	v_mul_f16_sdwa v53, v34, v0 dst_sel:DWORD dst_unused:UNUSED_PAD src0_sel:DWORD src1_sel:WORD_1
	v_mul_f16_sdwa v54, v20, v0 dst_sel:DWORD dst_unused:UNUSED_PAD src0_sel:DWORD src1_sel:WORD_1
	;; [unrolled: 1-line block ×12, first 2 shown]
	v_fma_f16 v20, v20, v0, -v53
	v_fma_f16 v34, v34, v0, v54
	v_fma_f16 v21, v21, v1, -v55
	v_fma_f16 v33, v33, v1, v56
	;; [unrolled: 2-line block ×4, first 2 shown]
	v_mul_f16_sdwa v53, v45, v4 dst_sel:DWORD dst_unused:UNUSED_PAD src0_sel:DWORD src1_sel:WORD_1
	v_mul_f16_sdwa v54, v26, v4 dst_sel:DWORD dst_unused:UNUSED_PAD src0_sel:DWORD src1_sel:WORD_1
	v_mul_f16_sdwa v55, v46, v5 dst_sel:DWORD dst_unused:UNUSED_PAD src0_sel:DWORD src1_sel:WORD_1
	v_mul_f16_sdwa v56, v27, v5 dst_sel:DWORD dst_unused:UNUSED_PAD src0_sel:DWORD src1_sel:WORD_1
	v_mul_f16_sdwa v62, v51, v17 dst_sel:DWORD dst_unused:UNUSED_PAD src0_sel:DWORD src1_sel:WORD_1
	v_mul_f16_sdwa v63, v30, v17 dst_sel:DWORD dst_unused:UNUSED_PAD src0_sel:DWORD src1_sel:WORD_1
	v_mul_f16_sdwa v64, v52, v18 dst_sel:DWORD dst_unused:UNUSED_PAD src0_sel:DWORD src1_sel:WORD_1
	v_mul_f16_sdwa v65, v42, v18 dst_sel:DWORD dst_unused:UNUSED_PAD src0_sel:DWORD src1_sel:WORD_1
	v_fma_f16 v22, v22, v2, -v58
	v_fma_f16 v32, v32, v2, v59
	v_fma_f16 v23, v23, v3, -v60
	v_fma_f16 v31, v31, v3, v61
	v_mul_f16_sdwa v58, v48, v6 dst_sel:DWORD dst_unused:UNUSED_PAD src0_sel:DWORD src1_sel:WORD_1
	v_mul_f16_sdwa v59, v28, v6 dst_sel:DWORD dst_unused:UNUSED_PAD src0_sel:DWORD src1_sel:WORD_1
	;; [unrolled: 1-line block ×4, first 2 shown]
	v_fma_f16 v26, v26, v4, -v53
	v_fma_f16 v45, v45, v4, v54
	v_fma_f16 v27, v27, v5, -v55
	v_fma_f16 v46, v46, v5, v56
	;; [unrolled: 2-line block ×6, first 2 shown]
	v_add_f16_e32 v53, v26, v42
	v_add_f16_e32 v54, v45, v52
	v_sub_f16_e32 v26, v26, v42
	v_sub_f16_e32 v42, v45, v52
	v_add_f16_e32 v45, v27, v30
	v_add_f16_e32 v52, v46, v51
	v_sub_f16_e32 v27, v27, v30
	v_sub_f16_e32 v30, v46, v51
	;; [unrolled: 4-line block ×4, first 2 shown]
	v_sub_f16_e32 v53, v53, v46
	v_sub_f16_e32 v54, v54, v51
	;; [unrolled: 1-line block ×4, first 2 shown]
	v_add_f16_e32 v58, v28, v27
	v_add_f16_e32 v59, v29, v30
	v_sub_f16_e32 v60, v28, v27
	v_sub_f16_e32 v61, v29, v30
	;; [unrolled: 1-line block ×4, first 2 shown]
	v_add_f16_e32 v46, v46, v48
	v_add_f16_e32 v48, v51, v49
	v_sub_f16_e32 v28, v26, v28
	v_sub_f16_e32 v29, v42, v29
	v_add_f16_e32 v26, v58, v26
	v_add_f16_e32 v42, v59, v42
	;; [unrolled: 1-line block ×3, first 2 shown]
	v_add_f16_sdwa v25, v25, v48 dst_sel:DWORD dst_unused:UNUSED_PAD src0_sel:WORD_1 src1_sel:DWORD
	v_mul_f16_e32 v49, 0x3a52, v53
	v_mul_f16_e32 v51, 0x3a52, v54
	;; [unrolled: 1-line block ×8, first 2 shown]
	v_fma_f16 v46, v46, s16, v58
	v_fma_f16 v48, v48, s16, v25
	;; [unrolled: 1-line block ×4, first 2 shown]
	v_fma_f16 v53, v55, s17, -v53
	v_fma_f16 v54, v56, s17, -v54
	;; [unrolled: 1-line block ×4, first 2 shown]
	v_fma_f16 v55, v28, s19, v59
	v_fma_f16 v56, v29, s19, v60
	v_fma_f16 v27, v27, s5, -v59
	v_fma_f16 v28, v28, s20, -v61
	;; [unrolled: 1-line block ×4, first 2 shown]
	v_add_f16_e32 v45, v45, v46
	v_add_f16_e32 v52, v52, v48
	;; [unrolled: 1-line block ×6, first 2 shown]
	v_fma_f16 v49, v26, s21, v55
	v_fma_f16 v27, v26, s21, v27
	;; [unrolled: 1-line block ×6, first 2 shown]
	v_sub_f16_e32 v42, v52, v49
	v_add_f16_e32 v59, v28, v46
	v_sub_f16_e32 v60, v48, v26
	v_sub_f16_e32 v28, v46, v28
	v_add_f16_e32 v26, v26, v48
	v_add_f16_e32 v46, v49, v52
	;; [unrolled: 1-line block ×4, first 2 shown]
	v_sub_f16_e32 v20, v20, v43
	v_sub_f16_e32 v34, v34, v44
	v_add_f16_e32 v43, v21, v24
	v_add_f16_e32 v44, v33, v35
	v_sub_f16_e32 v21, v21, v24
	v_sub_f16_e32 v24, v33, v35
	v_add_f16_e32 v33, v22, v23
	v_add_f16_e32 v35, v32, v31
	;; [unrolled: 4-line block ×3, first 2 shown]
	v_add_f16_e32 v29, v51, v45
	v_add_f16_e32 v62, v27, v54
	v_sub_f16_e32 v27, v54, v27
	v_sub_f16_e32 v45, v45, v51
	;; [unrolled: 1-line block ×8, first 2 shown]
	v_add_f16_e32 v54, v23, v24
	v_sub_f16_e32 v55, v22, v21
	v_sub_f16_e32 v56, v23, v24
	;; [unrolled: 1-line block ×3, first 2 shown]
	v_add_f16_e32 v31, v33, v31
	v_add_f16_e32 v32, v35, v32
	v_sub_f16_e32 v61, v53, v30
	v_add_f16_e32 v30, v30, v53
	v_add_f16_e32 v53, v22, v21
	v_sub_f16_e32 v22, v20, v22
	v_sub_f16_e32 v63, v34, v23
	;; [unrolled: 1-line block ×3, first 2 shown]
	v_add_f16_e32 v33, v54, v34
	v_add_f16_e32 v23, v19, v31
	;; [unrolled: 1-line block ×3, first 2 shown]
	v_mul_f16_e32 v19, 0x3a52, v48
	v_mul_f16_e32 v34, 0x3a52, v49
	;; [unrolled: 1-line block ×7, first 2 shown]
	v_add_f16_e32 v20, v53, v20
	v_mul_f16_e32 v53, 0x3b00, v21
	v_fma_f16 v31, v31, s16, v23
	v_fma_f16 v43, v43, s4, v19
	;; [unrolled: 1-line block ×3, first 2 shown]
	v_fma_f16 v35, v51, s17, -v35
	v_fma_f16 v41, v52, s17, -v41
	;; [unrolled: 1-line block ×4, first 2 shown]
	v_fma_f16 v51, v22, s19, v48
	v_fma_f16 v52, v63, s19, v49
	v_fma_f16 v21, v21, s5, -v48
	v_fma_f16 v48, v64, s5, -v49
	;; [unrolled: 1-line block ×3, first 2 shown]
	v_fma_f16 v32, v32, s16, v24
	v_fma_f16 v22, v22, s20, -v53
	v_add_f16_e32 v43, v43, v31
	v_add_f16_e32 v35, v35, v31
	;; [unrolled: 1-line block ×3, first 2 shown]
	v_fma_f16 v63, v33, s21, v52
	v_fma_f16 v48, v33, s21, v48
	;; [unrolled: 1-line block ×3, first 2 shown]
	v_add_f16_e32 v44, v44, v32
	v_add_f16_e32 v41, v41, v32
	;; [unrolled: 1-line block ×3, first 2 shown]
	v_fma_f16 v34, v20, s21, v51
	v_fma_f16 v54, v20, s21, v21
	;; [unrolled: 1-line block ×3, first 2 shown]
	v_add_f16_e32 v20, v33, v31
	v_sub_f16_e32 v56, v31, v33
	v_mul_u32_u24_e32 v31, 0x16c, v50
	v_add_lshl_u32 v50, v31, v57, 2
	v_pack_b32_f16 v25, v58, v25
	v_pack_b32_f16 v29, v29, v42
	ds_write2_b32 v50, v25, v29 offset1:52
	v_pack_b32_f16 v25, v59, v60
	v_pack_b32_f16 v29, v61, v62
	ds_write2_b32 v50, v25, v29 offset0:104 offset1:156
	v_pack_b32_f16 v25, v30, v27
	v_pack_b32_f16 v26, v28, v26
	v_add_u32_e32 v27, 0x200, v50
	v_add_f16_e32 v19, v63, v43
	v_sub_f16_e32 v51, v44, v34
	v_sub_f16_e32 v52, v32, v55
	;; [unrolled: 1-line block ×3, first 2 shown]
	v_add_f16_e32 v53, v54, v41
	v_add_f16_e32 v22, v48, v35
	v_sub_f16_e32 v54, v41, v54
	v_add_f16_e32 v55, v55, v32
	v_sub_f16_e32 v48, v43, v63
	v_add_f16_e32 v49, v34, v44
	ds_write2_b32 v27, v25, v26 offset0:80 offset1:132
	v_pack_b32_f16 v25, v45, v46
	v_lshlrev_b32_e32 v41, 2, v47
	ds_write_b32 v50, v25 offset:1248
	s_and_saveexec_b64 s[4:5], s[2:3]
	s_cbranch_execz .LBB0_11
; %bb.10:
	s_mov_b32 s16, 0x5040100
	v_perm_b32 v23, v24, v23, s16
	v_perm_b32 v24, v51, v19, s16
	v_add_u32_e32 v25, 0x1000, v41
	ds_write2_b32 v25, v23, v24 offset0:68 offset1:120
	v_perm_b32 v23, v52, v20, s16
	v_perm_b32 v24, v53, v21, s16
	ds_write2_b32 v25, v23, v24 offset0:172 offset1:224
	v_perm_b32 v23, v54, v22, s16
	v_perm_b32 v24, v55, v56, s16
	v_add_u32_e32 v25, 0x1400, v41
	ds_write2_b32 v25, v23, v24 offset0:20 offset1:72
	v_perm_b32 v23, v49, v48, s16
	ds_write_b32 v41, v23 offset:5616
.LBB0_11:
	s_or_b64 exec, exec, s[4:5]
	s_waitcnt lgkmcnt(0)
	s_barrier
	global_load_dword v42, v36, s[14:15] offset:1404
	global_load_dword v43, v36, s[14:15] offset:2132
	v_add_u32_e32 v35, 0xb00, v36
	ds_read2_b32 v[23:24], v36 offset1:182
	v_add_u32_e32 v65, 0x500, v36
	v_add_u32_e32 v66, 0x1000, v36
	ds_read2_b32 v[25:26], v35 offset0:24 offset1:206
	ds_read2_b32 v[27:28], v65 offset0:44 offset1:226
	ds_read2_b32 v[29:30], v66 offset0:68 offset1:250
	v_mov_b32_e32 v31, s15
	s_waitcnt lgkmcnt(3)
	v_lshrrev_b32_e32 v33, 16, v23
	s_waitcnt lgkmcnt(2)
	v_lshrrev_b32_e32 v44, 16, v25
	v_lshrrev_b32_e32 v45, 16, v26
	s_waitcnt lgkmcnt(0)
	v_lshrrev_b32_e32 v47, 16, v29
	v_lshrrev_b32_e32 v58, 16, v30
	v_lshrrev_b32_e32 v34, 16, v24
	v_lshrrev_b32_e32 v46, 16, v27
	v_lshrrev_b32_e32 v57, 16, v28
	v_add_co_u32_e32 v32, vcc, s14, v36
	s_movk_i32 s16, 0x1000
	v_addc_co_u32_e32 v31, vcc, 0, v31, vcc
	s_waitcnt vmcnt(0)
	s_barrier
	v_mul_f16_sdwa v59, v44, v42 dst_sel:DWORD dst_unused:UNUSED_PAD src0_sel:DWORD src1_sel:WORD_1
	v_mul_f16_sdwa v60, v25, v42 dst_sel:DWORD dst_unused:UNUSED_PAD src0_sel:DWORD src1_sel:WORD_1
	v_mul_f16_sdwa v61, v45, v43 dst_sel:DWORD dst_unused:UNUSED_PAD src0_sel:DWORD src1_sel:WORD_1
	v_mul_f16_sdwa v62, v26, v43 dst_sel:DWORD dst_unused:UNUSED_PAD src0_sel:DWORD src1_sel:WORD_1
	v_mul_f16_sdwa v63, v47, v42 dst_sel:DWORD dst_unused:UNUSED_PAD src0_sel:DWORD src1_sel:WORD_1
	v_mul_f16_sdwa v64, v29, v42 dst_sel:DWORD dst_unused:UNUSED_PAD src0_sel:DWORD src1_sel:WORD_1
	v_mul_f16_sdwa v67, v58, v43 dst_sel:DWORD dst_unused:UNUSED_PAD src0_sel:DWORD src1_sel:WORD_1
	v_mul_f16_sdwa v68, v30, v43 dst_sel:DWORD dst_unused:UNUSED_PAD src0_sel:DWORD src1_sel:WORD_1
	v_fma_f16 v25, v25, v42, -v59
	v_fma_f16 v44, v44, v42, v60
	v_fma_f16 v26, v26, v43, -v61
	v_fma_f16 v45, v45, v43, v62
	;; [unrolled: 2-line block ×4, first 2 shown]
	v_sub_f16_e32 v25, v23, v25
	v_sub_f16_e32 v44, v33, v44
	;; [unrolled: 1-line block ×8, first 2 shown]
	v_fma_f16 v23, v23, 2.0, -v25
	v_fma_f16 v33, v33, 2.0, -v44
	;; [unrolled: 1-line block ×8, first 2 shown]
	v_pack_b32_f16 v25, v25, v44
	v_pack_b32_f16 v26, v26, v45
	;; [unrolled: 1-line block ×6, first 2 shown]
	ds_write2_b32 v65, v25, v26 offset0:44 offset1:226
	v_pack_b32_f16 v25, v27, v46
	v_pack_b32_f16 v26, v28, v57
	ds_write2_b32 v66, v29, v30 offset0:68 offset1:250
	ds_write2_b32 v36, v23, v24 offset1:182
	ds_write2_b32 v35, v25, v26 offset0:24 offset1:206
	v_add_co_u32_e32 v23, vcc, s16, v32
	v_addc_co_u32_e32 v24, vcc, 0, v31, vcc
	s_waitcnt lgkmcnt(0)
	s_barrier
	global_load_dword v44, v36, s[14:15] offset:2860
	global_load_dword v45, v36, s[14:15] offset:3588
	global_load_dword v46, v[23:24], off offset:220
	global_load_dword v47, v[23:24], off offset:948
	ds_read2_b32 v[31:32], v36 offset1:182
	ds_read2_b32 v[23:24], v35 offset0:24 offset1:206
	ds_read2_b32 v[33:34], v65 offset0:44 offset1:226
	;; [unrolled: 1-line block ×3, first 2 shown]
	s_waitcnt lgkmcnt(3)
	v_lshrrev_b32_e32 v27, 16, v31
	s_waitcnt lgkmcnt(2)
	v_lshrrev_b32_e32 v28, 16, v23
	v_lshrrev_b32_e32 v30, 16, v24
	s_waitcnt lgkmcnt(0)
	v_lshrrev_b32_e32 v57, 16, v25
	v_lshrrev_b32_e32 v58, 16, v26
	;; [unrolled: 1-line block ×5, first 2 shown]
	s_waitcnt vmcnt(3)
	v_mul_f16_sdwa v59, v28, v44 dst_sel:DWORD dst_unused:UNUSED_PAD src0_sel:DWORD src1_sel:WORD_1
	v_mul_f16_sdwa v60, v23, v44 dst_sel:DWORD dst_unused:UNUSED_PAD src0_sel:DWORD src1_sel:WORD_1
	s_waitcnt vmcnt(2)
	v_mul_f16_sdwa v61, v30, v45 dst_sel:DWORD dst_unused:UNUSED_PAD src0_sel:DWORD src1_sel:WORD_1
	v_mul_f16_sdwa v64, v24, v45 dst_sel:DWORD dst_unused:UNUSED_PAD src0_sel:DWORD src1_sel:WORD_1
	;; [unrolled: 3-line block ×4, first 2 shown]
	v_fma_f16 v23, v23, v44, -v59
	v_fma_f16 v28, v28, v44, v60
	v_fma_f16 v59, v24, v45, -v61
	v_fma_f16 v30, v30, v45, v64
	;; [unrolled: 2-line block ×4, first 2 shown]
	v_sub_f16_e32 v24, v31, v23
	v_sub_f16_e32 v57, v27, v28
	;; [unrolled: 1-line block ×8, first 2 shown]
	v_fma_f16 v23, v31, 2.0, -v24
	v_fma_f16 v59, v27, 2.0, -v57
	;; [unrolled: 1-line block ×8, first 2 shown]
	v_pack_b32_f16 v31, v24, v57
	v_pack_b32_f16 v32, v26, v58
	;; [unrolled: 1-line block ×6, first 2 shown]
	ds_write2_b32 v35, v31, v32 offset0:24 offset1:206
	v_pack_b32_f16 v31, v27, v62
	v_pack_b32_f16 v32, v29, v63
	ds_write2_b32 v66, v33, v34 offset0:68 offset1:250
	ds_write2_b32 v36, v67, v68 offset1:182
	ds_write2_b32 v65, v31, v32 offset0:44 offset1:226
	s_waitcnt lgkmcnt(0)
	s_barrier
	s_and_saveexec_b64 s[4:5], s[0:1]
	s_cbranch_execz .LBB0_13
; %bb.12:
	v_mov_b32_e32 v31, s7
	v_add_co_u32_e32 v35, vcc, s6, v36
	v_addc_co_u32_e32 v65, vcc, 0, v31, vcc
	v_add_co_u32_e32 v31, vcc, 0x16c0, v35
	v_addc_co_u32_e32 v32, vcc, 0, v65, vcc
	;; [unrolled: 2-line block ×3, first 2 shown]
	global_load_dword v66, v[33:34], off offset:1728
	global_load_dword v71, v[31:32], off offset:448
	;; [unrolled: 1-line block ×9, first 2 shown]
	s_movk_i32 s14, 0x2000
	v_add_co_u32_e32 v33, vcc, s14, v35
	v_addc_co_u32_e32 v34, vcc, 0, v65, vcc
	global_load_dword v35, v[33:34], off offset:2112
	global_load_dword v79, v[33:34], off offset:2560
	;; [unrolled: 1-line block ×4, first 2 shown]
	ds_read_b32 v31, v36
	v_add_u32_e32 v82, 0x400, v36
	v_add_u32_e32 v83, 0x800, v36
	;; [unrolled: 1-line block ×4, first 2 shown]
	s_waitcnt lgkmcnt(0)
	v_lshrrev_b32_e32 v32, 16, v31
	s_waitcnt vmcnt(12)
	v_mul_f16_sdwa v33, v32, v66 dst_sel:DWORD dst_unused:UNUSED_PAD src0_sel:DWORD src1_sel:WORD_1
	v_mul_f16_sdwa v34, v31, v66 dst_sel:DWORD dst_unused:UNUSED_PAD src0_sel:DWORD src1_sel:WORD_1
	v_fma_f16 v31, v31, v66, -v33
	v_fma_f16 v32, v32, v66, v34
	v_pack_b32_f16 v31, v31, v32
	ds_write_b32 v36, v31
	ds_read2_b32 v[31:32], v36 offset0:112 offset1:224
	ds_read2_b32 v[33:34], v82 offset0:80 offset1:192
	;; [unrolled: 1-line block ×5, first 2 shown]
	s_waitcnt lgkmcnt(4)
	v_lshrrev_b32_e32 v86, 16, v31
	s_waitcnt vmcnt(11)
	v_mul_f16_sdwa v87, v31, v71 dst_sel:DWORD dst_unused:UNUSED_PAD src0_sel:DWORD src1_sel:WORD_1
	v_lshrrev_b32_e32 v88, 16, v32
	s_waitcnt vmcnt(10)
	v_mul_f16_sdwa v89, v32, v72 dst_sel:DWORD dst_unused:UNUSED_PAD src0_sel:DWORD src1_sel:WORD_1
	s_waitcnt lgkmcnt(3)
	v_lshrrev_b32_e32 v90, 16, v33
	s_waitcnt vmcnt(9)
	v_mul_f16_sdwa v91, v33, v73 dst_sel:DWORD dst_unused:UNUSED_PAD src0_sel:DWORD src1_sel:WORD_1
	v_lshrrev_b32_e32 v92, 16, v34
	s_waitcnt vmcnt(8)
	v_mul_f16_sdwa v93, v34, v74 dst_sel:DWORD dst_unused:UNUSED_PAD src0_sel:DWORD src1_sel:WORD_1
	s_waitcnt lgkmcnt(2)
	v_lshrrev_b32_e32 v94, 16, v65
	s_waitcnt vmcnt(7)
	v_mul_f16_sdwa v95, v65, v75 dst_sel:DWORD dst_unused:UNUSED_PAD src0_sel:DWORD src1_sel:WORD_1
	v_lshrrev_b32_e32 v96, 16, v66
	v_mul_f16_sdwa v101, v86, v71 dst_sel:DWORD dst_unused:UNUSED_PAD src0_sel:DWORD src1_sel:WORD_1
	v_fma_f16 v86, v86, v71, v87
	v_mul_f16_sdwa v87, v88, v72 dst_sel:DWORD dst_unused:UNUSED_PAD src0_sel:DWORD src1_sel:WORD_1
	s_waitcnt vmcnt(6)
	v_mul_f16_sdwa v97, v66, v76 dst_sel:DWORD dst_unused:UNUSED_PAD src0_sel:DWORD src1_sel:WORD_1
	v_fma_f16 v88, v88, v72, v89
	v_mul_f16_sdwa v89, v90, v73 dst_sel:DWORD dst_unused:UNUSED_PAD src0_sel:DWORD src1_sel:WORD_1
	v_fma_f16 v90, v90, v73, v91
	;; [unrolled: 2-line block ×4, first 2 shown]
	v_mul_f16_sdwa v95, v96, v76 dst_sel:DWORD dst_unused:UNUSED_PAD src0_sel:DWORD src1_sel:WORD_1
	v_fma_f16 v31, v31, v71, -v101
	v_fma_f16 v32, v32, v72, -v87
	s_waitcnt lgkmcnt(1)
	v_lshrrev_b32_e32 v98, 16, v67
	s_waitcnt vmcnt(5)
	v_mul_f16_sdwa v99, v67, v77 dst_sel:DWORD dst_unused:UNUSED_PAD src0_sel:DWORD src1_sel:WORD_1
	v_lshrrev_b32_e32 v100, 16, v68
	v_fma_f16 v96, v96, v76, v97
	v_fma_f16 v33, v33, v73, -v89
	v_fma_f16 v34, v34, v74, -v91
	;; [unrolled: 1-line block ×4, first 2 shown]
	v_pack_b32_f16 v31, v31, v86
	v_pack_b32_f16 v32, v32, v88
	v_mul_f16_sdwa v97, v98, v77 dst_sel:DWORD dst_unused:UNUSED_PAD src0_sel:DWORD src1_sel:WORD_1
	v_fma_f16 v98, v98, v77, v99
	s_waitcnt vmcnt(4)
	v_mul_f16_sdwa v99, v100, v78 dst_sel:DWORD dst_unused:UNUSED_PAD src0_sel:DWORD src1_sel:WORD_1
	v_pack_b32_f16 v33, v33, v90
	v_pack_b32_f16 v34, v34, v92
	;; [unrolled: 1-line block ×4, first 2 shown]
	ds_write2_b32 v36, v31, v32 offset0:112 offset1:224
	ds_write2_b32 v82, v33, v34 offset0:80 offset1:192
	;; [unrolled: 1-line block ×3, first 2 shown]
	v_mul_f16_sdwa v31, v68, v78 dst_sel:DWORD dst_unused:UNUSED_PAD src0_sel:DWORD src1_sel:WORD_1
	v_fma_f16 v67, v67, v77, -v97
	v_fma_f16 v71, v68, v78, -v99
	v_fma_f16 v31, v100, v78, v31
	v_pack_b32_f16 v67, v67, v98
	v_pack_b32_f16 v31, v71, v31
	ds_write2_b32 v84, v67, v31 offset0:16 offset1:128
	s_waitcnt lgkmcnt(4)
	v_lshrrev_b32_e32 v31, 16, v69
	s_waitcnt vmcnt(0)
	v_mul_f16_sdwa v32, v31, v81 dst_sel:DWORD dst_unused:UNUSED_PAD src0_sel:DWORD src1_sel:WORD_1
	v_mul_f16_sdwa v33, v69, v81 dst_sel:DWORD dst_unused:UNUSED_PAD src0_sel:DWORD src1_sel:WORD_1
	v_fma_f16 v32, v69, v81, -v32
	v_fma_f16 v31, v31, v81, v33
	v_lshrrev_b32_e32 v34, 16, v70
	v_pack_b32_f16 v33, v32, v31
	v_mul_f16_sdwa v31, v34, v35 dst_sel:DWORD dst_unused:UNUSED_PAD src0_sel:DWORD src1_sel:WORD_1
	v_add_u32_e32 v66, 0x1200, v36
	v_fma_f16 v65, v70, v35, -v31
	ds_read2_b32 v[31:32], v66 offset0:80 offset1:192
	v_mul_f16_sdwa v67, v70, v35 dst_sel:DWORD dst_unused:UNUSED_PAD src0_sel:DWORD src1_sel:WORD_1
	v_fma_f16 v34, v34, v35, v67
	v_pack_b32_f16 v34, v65, v34
	ds_write2_b32 v85, v33, v34 offset0:112 offset1:224
	s_waitcnt lgkmcnt(1)
	v_lshrrev_b32_e32 v33, 16, v31
	v_mul_f16_sdwa v34, v33, v79 dst_sel:DWORD dst_unused:UNUSED_PAD src0_sel:DWORD src1_sel:WORD_1
	v_fma_f16 v34, v31, v79, -v34
	v_mul_f16_sdwa v31, v31, v79 dst_sel:DWORD dst_unused:UNUSED_PAD src0_sel:DWORD src1_sel:WORD_1
	v_fma_f16 v31, v33, v79, v31
	v_lshrrev_b32_e32 v33, 16, v32
	v_pack_b32_f16 v31, v34, v31
	v_mul_f16_sdwa v34, v33, v80 dst_sel:DWORD dst_unused:UNUSED_PAD src0_sel:DWORD src1_sel:WORD_1
	v_fma_f16 v34, v32, v80, -v34
	v_mul_f16_sdwa v32, v32, v80 dst_sel:DWORD dst_unused:UNUSED_PAD src0_sel:DWORD src1_sel:WORD_1
	v_fma_f16 v32, v33, v80, v32
	v_pack_b32_f16 v32, v34, v32
	ds_write2_b32 v66, v31, v32 offset0:80 offset1:192
.LBB0_13:
	s_or_b64 exec, exec, s[4:5]
	s_waitcnt lgkmcnt(0)
	s_barrier
	s_and_saveexec_b64 s[4:5], s[0:1]
	s_cbranch_execz .LBB0_15
; %bb.14:
	v_add_u32_e32 v19, 0x200, v36
	ds_read2_b32 v[25:26], v19 offset0:96 offset1:208
	v_add_u32_e32 v19, 0xa00, v36
	v_add_u32_e32 v20, 0x600, v36
	ds_read2_b32 v[29:30], v19 offset0:32 offset1:144
	v_add_u32_e32 v19, 0xc00, v36
	v_add_u32_e32 v21, 0x1000, v36
	ds_read2_b32 v[23:24], v36 offset1:112
	ds_read2_b32 v[27:28], v20 offset0:64 offset1:176
	ds_read2_b32 v[19:20], v19 offset0:128 offset1:240
	;; [unrolled: 1-line block ×3, first 2 shown]
	ds_read_b32 v56, v36 offset:5376
	s_waitcnt lgkmcnt(4)
	v_lshrrev_b32_e32 v59, 16, v23
	v_lshrrev_b32_e32 v57, 16, v24
	;; [unrolled: 1-line block ×4, first 2 shown]
	s_waitcnt lgkmcnt(3)
	v_lshrrev_b32_e32 v62, 16, v27
	v_lshrrev_b32_e32 v60, 16, v28
	;; [unrolled: 1-line block ×4, first 2 shown]
	s_waitcnt lgkmcnt(2)
	v_lshrrev_b32_e32 v51, 16, v19
	v_lshrrev_b32_e32 v52, 16, v20
	s_waitcnt lgkmcnt(1)
	v_lshrrev_b32_e32 v53, 16, v21
	v_lshrrev_b32_e32 v54, 16, v22
	s_waitcnt lgkmcnt(0)
	v_lshrrev_b32_e32 v55, 16, v56
.LBB0_15:
	s_or_b64 exec, exec, s[4:5]
	v_sub_f16_e32 v99, v57, v55
	v_add_f16_e32 v87, v56, v24
	v_add_f16_e32 v91, v55, v57
	s_movk_i32 s14, 0x3b15
	v_mul_f16_e32 v70, 0xb770, v99
	v_sub_f16_e32 v115, v61, v54
	v_sub_f16_e32 v104, v24, v56
	s_mov_b32 s4, 0xb770
	v_mul_f16_e32 v71, 0x3b15, v91
	v_fma_f16 v31, v87, s14, -v70
	s_movk_i32 s15, 0x388b
	v_add_f16_e32 v102, v22, v25
	v_add_f16_e32 v107, v54, v61
	v_mul_f16_e32 v73, 0xba95, v115
	v_add_f16_e32 v31, v23, v31
	v_fma_f16 v32, v104, s4, v71
	s_mov_b32 s5, 0xba95
	v_sub_f16_e32 v121, v25, v22
	v_mul_f16_e32 v75, 0x388b, v107
	v_fma_f16 v77, v102, s15, -v73
	v_add_f16_e32 v32, v59, v32
	v_mul_f16_e32 v72, 0xba95, v99
	v_add_f16_e32 v31, v77, v31
	v_fma_f16 v77, v121, s5, v75
	v_mul_f16_e32 v74, 0x388b, v91
	v_fma_f16 v33, v87, s15, -v72
	s_mov_b32 s17, 0xb5ac
	v_add_f16_e32 v32, v77, v32
	v_mul_f16_e32 v77, 0xbb7b, v115
	v_add_f16_e32 v33, v23, v33
	v_fma_f16 v34, v104, s5, v74
	s_movk_i32 s16, 0x2fb7
	v_mul_f16_e32 v76, 0xbbf1, v99
	s_mov_b32 s4, 0xbb7b
	v_mul_f16_e32 v80, 0xb5ac, v107
	v_fma_f16 v78, v102, s17, -v77
	v_add_f16_e32 v34, v59, v34
	s_mov_b32 s20, 0xbbf1
	v_mul_f16_e32 v79, 0x2fb7, v91
	v_fma_f16 v35, v87, s16, -v76
	v_add_f16_e32 v33, v78, v33
	v_fma_f16 v78, v121, s4, v80
	s_mov_b32 s19, 0xbbc4
	v_mul_f16_e32 v83, 0xb3a8, v115
	v_add_f16_e32 v35, v23, v35
	v_fma_f16 v65, v104, s20, v79
	v_mul_f16_e32 v82, 0xbb7b, v99
	v_add_f16_e32 v34, v78, v34
	s_mov_b32 s22, 0xb3a8
	v_mul_f16_e32 v88, 0xbbc4, v107
	v_fma_f16 v78, v102, s19, -v83
	v_add_f16_e32 v65, v59, v65
	v_mul_f16_e32 v85, 0xb5ac, v91
	v_fma_f16 v66, v87, s17, -v82
	s_mov_b32 s18, 0xb9fd
	v_add_f16_e32 v35, v78, v35
	v_fma_f16 v78, v121, s22, v88
	v_mul_f16_e32 v93, 0x394e, v115
	v_add_f16_e32 v66, v23, v66
	v_fma_f16 v67, v104, s4, v85
	v_mul_f16_e32 v92, 0xb94e, v99
	v_add_f16_e32 v65, v78, v65
	s_movk_i32 s23, 0x394e
	v_mul_f16_e32 v98, 0xb9fd, v107
	v_fma_f16 v78, v102, s18, -v93
	v_add_f16_e32 v67, v59, v67
	s_mov_b32 s21, 0xb94e
	v_mul_f16_e32 v96, 0xb9fd, v91
	v_fma_f16 v68, v87, s18, -v92
	v_add_f16_e32 v66, v78, v66
	v_fma_f16 v78, v121, s23, v98
	v_mul_f16_e32 v105, 0x3bf1, v115
	v_add_f16_e32 v68, v23, v68
	v_fma_f16 v69, v104, s21, v96
	v_add_f16_e32 v67, v78, v67
	s_movk_i32 s24, 0x3bf1
	v_mul_f16_e32 v111, 0x2fb7, v107
	v_fma_f16 v78, v102, s16, -v105
	v_add_f16_e32 v69, v59, v69
	v_add_f16_e32 v68, v78, v68
	v_fma_f16 v78, v121, s24, v111
	v_sub_f16_e32 v127, v58, v53
	v_add_f16_e32 v69, v78, v69
	v_add_f16_e32 v117, v21, v26
	;; [unrolled: 1-line block ×3, first 2 shown]
	v_mul_f16_e32 v78, 0xbbf1, v127
	v_sub_f16_e32 v134, v26, v21
	v_mul_f16_e32 v81, 0x2fb7, v122
	v_fma_f16 v84, v117, s16, -v78
	v_add_f16_e32 v31, v84, v31
	v_fma_f16 v84, v134, s20, v81
	v_add_f16_e32 v32, v84, v32
	v_mul_f16_e32 v84, 0xb3a8, v127
	v_mul_f16_e32 v89, 0xbbc4, v122
	v_fma_f16 v86, v117, s19, -v84
	v_add_f16_e32 v33, v86, v33
	v_fma_f16 v86, v134, s22, v89
	v_mul_f16_e32 v94, 0x3b7b, v127
	v_add_f16_e32 v34, v86, v34
	s_movk_i32 s25, 0x3b7b
	v_mul_f16_e32 v100, 0xb5ac, v122
	v_fma_f16 v86, v117, s17, -v94
	v_add_f16_e32 v35, v86, v35
	v_fma_f16 v86, v134, s25, v100
	v_mul_f16_e32 v106, 0x3770, v127
	v_add_f16_e32 v65, v86, v65
	s_movk_i32 s25, 0x3770
	v_mul_f16_e32 v112, 0x3b15, v122
	v_fma_f16 v86, v117, s14, -v106
	v_add_f16_e32 v66, v86, v66
	v_fma_f16 v86, v134, s25, v112
	v_mul_f16_e32 v118, 0xba95, v127
	v_add_f16_e32 v67, v86, v67
	v_mul_f16_e32 v124, 0x388b, v122
	v_fma_f16 v86, v117, s15, -v118
	v_add_f16_e32 v68, v86, v68
	v_fma_f16 v86, v134, s5, v124
	v_sub_f16_e32 v137, v62, v52
	v_add_f16_e32 v69, v86, v69
	v_add_f16_e32 v128, v20, v27
	;; [unrolled: 1-line block ×3, first 2 shown]
	v_mul_f16_e32 v86, 0xbb7b, v137
	v_sub_f16_e32 v143, v27, v20
	v_mul_f16_e32 v90, 0xb5ac, v133
	v_fma_f16 v95, v128, s17, -v86
	v_add_f16_e32 v31, v95, v31
	v_fma_f16 v95, v143, s4, v90
	v_add_f16_e32 v32, v95, v32
	v_mul_f16_e32 v95, 0x394e, v137
	v_mul_f16_e32 v101, 0xb9fd, v133
	v_fma_f16 v97, v128, s18, -v95
	v_add_f16_e32 v33, v97, v33
	v_fma_f16 v97, v143, s23, v101
	v_mul_f16_e32 v108, 0x3770, v137
	v_add_f16_e32 v34, v97, v34
	v_mul_f16_e32 v113, 0x3b15, v133
	v_fma_f16 v97, v128, s14, -v108
	v_add_f16_e32 v35, v97, v35
	v_fma_f16 v97, v143, s25, v113
	v_mul_f16_e32 v119, 0xbbf1, v137
	v_add_f16_e32 v65, v97, v65
	;; [unrolled: 6-line block ×3, first 2 shown]
	s_movk_i32 s20, 0x33a8
	v_mul_f16_e32 v135, 0xbbc4, v133
	v_fma_f16 v97, v128, s19, -v129
	v_add_f16_e32 v68, v97, v68
	v_fma_f16 v97, v143, s20, v135
	v_sub_f16_e32 v145, v60, v51
	v_add_f16_e32 v69, v97, v69
	v_add_f16_e32 v138, v19, v28
	;; [unrolled: 1-line block ×3, first 2 shown]
	v_mul_f16_e32 v97, 0xb94e, v145
	v_sub_f16_e32 v149, v28, v19
	v_mul_f16_e32 v103, 0xb9fd, v142
	v_fma_f16 v109, v138, s18, -v97
	v_add_f16_e32 v31, v109, v31
	v_fma_f16 v109, v149, s21, v103
	v_add_f16_e32 v32, v109, v32
	v_mul_f16_e32 v109, 0x3bf1, v145
	v_mul_f16_e32 v114, 0x2fb7, v142
	v_fma_f16 v110, v138, s16, -v109
	v_add_f16_e32 v131, v110, v33
	v_fma_f16 v33, v149, s24, v114
	v_mul_f16_e32 v120, 0xba95, v145
	v_add_f16_e32 v139, v33, v34
	v_mul_f16_e32 v126, 0x388b, v142
	v_fma_f16 v33, v138, s15, -v120
	v_add_f16_e32 v34, v33, v35
	v_fma_f16 v33, v149, s5, v126
	v_mul_f16_e32 v130, 0x33a8, v145
	v_add_f16_e32 v146, v33, v65
	;; [unrolled: 6-line block ×3, first 2 shown]
	v_mul_f16_e32 v144, 0x3b15, v142
	v_fma_f16 v33, v138, s14, -v140
	v_sub_f16_e32 v152, v63, v64
	v_add_f16_e32 v154, v33, v68
	v_fma_f16 v33, v149, s25, v144
	v_add_f16_e32 v147, v30, v29
	v_add_f16_e32 v148, v64, v63
	v_mul_f16_e32 v110, 0xb3a8, v152
	v_add_f16_e32 v69, v33, v69
	v_sub_f16_e32 v153, v29, v30
	v_mul_f16_e32 v116, 0xbbc4, v148
	v_fma_f16 v33, v147, s19, -v110
	v_add_f16_e32 v33, v33, v31
	v_fma_f16 v31, v153, s22, v116
	v_mul_f16_e32 v123, 0x3770, v152
	v_add_f16_e32 v65, v31, v32
	v_fma_f16 v31, v147, s14, -v123
	v_mul_f16_e32 v132, 0xb94e, v152
	v_add_f16_e32 v32, v31, v131
	v_fma_f16 v31, v147, s18, -v132
	;; [unrolled: 3-line block ×3, first 2 shown]
	v_mul_f16_e32 v131, 0x3b15, v148
	v_add_f16_e32 v34, v31, v66
	v_fma_f16 v31, v153, s25, v131
	v_add_f16_e32 v67, v31, v139
	v_mul_f16_e32 v139, 0xb9fd, v148
	v_fma_f16 v31, v153, s21, v139
	v_add_f16_e32 v68, v31, v146
	s_movk_i32 s5, 0x3a95
	v_mul_f16_e32 v146, 0x388b, v148
	v_fma_f16 v31, v153, s5, v146
	v_mul_f16_e32 v151, 0xb5ac, v148
	v_add_f16_e32 v66, v31, v150
	v_fma_f16 v31, v153, s4, v151
	v_mul_f16_e32 v150, 0xbb7b, v152
	v_add_f16_e32 v69, v31, v69
	v_fma_f16 v31, v147, s17, -v150
	v_add_f16_e32 v31, v31, v154
	s_barrier
	s_and_saveexec_b64 s[4:5], s[0:1]
	s_cbranch_execz .LBB0_17
; %bb.16:
	v_mul_f16_e32 v155, 0xb770, v104
	v_mul_f16_e32 v157, 0xba95, v104
	;; [unrolled: 1-line block ×11, first 2 shown]
	v_fma_f16 v214, v91, s19, v104
	v_mul_f16_e32 v121, 0x3770, v121
	v_mul_f16_e32 v175, 0xbbf1, v134
	v_mul_f16_e32 v177, 0xb3a8, v134
	v_mul_f16_e32 v179, 0x3b7b, v134
	v_mul_f16_e32 v181, 0x3770, v134
	v_mul_f16_e32 v183, 0xba95, v134
	v_add_f16_e32 v214, v59, v214
	v_fma_f16 v215, v107, s14, v121
	v_mul_f16_e32 v134, 0xb94e, v134
	v_mul_f16_e32 v185, 0xbb7b, v143
	v_mul_f16_e32 v187, 0x394e, v143
	v_mul_f16_e32 v189, 0x3770, v143
	v_mul_f16_e32 v191, 0xbbf1, v143
	v_mul_f16_e32 v193, 0x33a8, v143
	v_add_f16_e32 v214, v215, v214
	;; [unrolled: 8-line block ×5, first 2 shown]
	v_fma_f16 v215, v148, s16, v153
	v_mul_f16_e32 v99, 0xb3a8, v99
	v_add_f16_e32 v214, v215, v214
	v_fma_f16 v215, v87, s19, -v99
	v_fma_f16 v87, v87, s19, v99
	v_add_f16_e32 v92, v162, v92
	v_add_f16_e32 v82, v160, v82
	;; [unrolled: 1-line block ×17, first 2 shown]
	v_mul_f16_e32 v115, 0x3770, v115
	v_add_f16_e32 v23, v29, v23
	v_mul_f16_e32 v127, 0xb94e, v127
	v_fma_f16 v99, v102, s14, v115
	v_add_f16_e32 v23, v30, v23
	v_mul_f16_e32 v137, 0x3a95, v137
	v_add_f16_e32 v87, v99, v87
	v_fma_f16 v99, v117, s18, v127
	v_add_f16_e32 v19, v19, v23
	v_mul_f16_e32 v145, 0xbb7b, v145
	v_add_f16_e32 v87, v99, v87
	v_fma_f16 v99, v128, s15, v137
	v_add_f16_e32 v19, v20, v19
	v_add_f16_e32 v20, v57, v59
	v_mul_f16_e32 v152, 0x3bf1, v152
	v_add_f16_e32 v87, v99, v87
	v_fma_f16 v99, v138, s17, v145
	v_add_f16_e32 v20, v61, v20
	v_add_f16_e32 v87, v99, v87
	v_fma_f16 v99, v147, s16, v152
	v_sub_f16_e32 v96, v96, v163
	v_add_f16_e32 v20, v58, v20
	v_add_f16_e32 v87, v99, v87
	;; [unrolled: 1-line block ×3, first 2 shown]
	v_sub_f16_e32 v99, v111, v173
	v_add_f16_e32 v20, v62, v20
	v_add_f16_e32 v96, v99, v96
	v_sub_f16_e32 v99, v124, v183
	v_add_f16_e32 v20, v60, v20
	v_mul_f16_e32 v164, 0x388b, v102
	v_add_f16_e32 v96, v99, v96
	v_sub_f16_e32 v99, v135, v193
	v_sub_f16_e32 v71, v71, v155
	v_add_f16_e32 v20, v63, v20
	v_mul_f16_e32 v166, 0xb5ac, v102
	v_mul_f16_e32 v168, 0xbbc4, v102
	;; [unrolled: 1-line block ×3, first 2 shown]
	v_add_f16_e32 v96, v99, v96
	v_sub_f16_e32 v99, v144, v203
	v_sub_f16_e32 v79, v79, v159
	;; [unrolled: 1-line block ×3, first 2 shown]
	v_add_f16_e32 v71, v59, v71
	v_sub_f16_e32 v75, v75, v165
	v_add_f16_e32 v73, v164, v73
	v_add_f16_e32 v20, v64, v20
	v_mul_f16_e32 v170, 0xb9fd, v102
	v_mul_f16_e32 v172, 0x2fb7, v102
	;; [unrolled: 1-line block ×5, first 2 shown]
	v_add_f16_e32 v96, v99, v96
	v_sub_f16_e32 v99, v151, v213
	v_sub_f16_e32 v85, v85, v161
	v_add_f16_e32 v79, v59, v79
	v_sub_f16_e32 v88, v88, v169
	v_add_f16_e32 v83, v168, v83
	v_add_f16_e32 v74, v59, v74
	v_sub_f16_e32 v80, v80, v167
	v_add_f16_e32 v77, v166, v77
	;; [unrolled: 3-line block ×3, first 2 shown]
	v_add_f16_e32 v73, v174, v78
	v_add_f16_e32 v20, v51, v20
	v_mul_f16_e32 v180, 0x3b15, v117
	v_mul_f16_e32 v182, 0x388b, v117
	;; [unrolled: 1-line block ×5, first 2 shown]
	v_fma_f16 v91, v91, s19, -v104
	v_add_f16_e32 v96, v99, v96
	v_add_f16_e32 v99, v172, v105
	;; [unrolled: 1-line block ×3, first 2 shown]
	v_sub_f16_e32 v98, v98, v171
	v_add_f16_e32 v93, v170, v93
	v_add_f16_e32 v79, v88, v79
	v_sub_f16_e32 v88, v100, v179
	v_add_f16_e32 v76, v83, v76
	v_add_f16_e32 v83, v178, v94
	v_add_f16_e32 v74, v80, v74
	v_sub_f16_e32 v80, v89, v177
	v_add_f16_e32 v72, v77, v72
	;; [unrolled: 4-line block ×3, first 2 shown]
	v_add_f16_e32 v73, v184, v86
	v_add_f16_e32 v20, v52, v20
	v_mul_f16_e32 v190, 0x2fb7, v128
	v_mul_f16_e32 v192, 0xbbc4, v128
	;; [unrolled: 1-line block ×5, first 2 shown]
	v_fma_f16 v216, v102, s14, -v115
	v_add_f16_e32 v91, v59, v91
	v_fma_f16 v104, v107, s14, -v121
	v_add_f16_e32 v92, v99, v92
	v_add_f16_e32 v99, v182, v118
	v_add_f16_e32 v85, v98, v85
	v_sub_f16_e32 v98, v112, v181
	v_add_f16_e32 v82, v93, v82
	v_add_f16_e32 v93, v180, v106
	v_add_f16_e32 v79, v88, v79
	v_sub_f16_e32 v88, v113, v189
	;; [unrolled: 4-line block ×4, first 2 shown]
	v_add_f16_e32 v70, v73, v70
	v_add_f16_e32 v73, v194, v97
	;; [unrolled: 1-line block ×4, first 2 shown]
	v_mul_f16_e32 v200, 0xbbc4, v138
	v_mul_f16_e32 v202, 0x3b15, v138
	;; [unrolled: 1-line block ×4, first 2 shown]
	v_add_f16_e32 v215, v216, v215
	v_fma_f16 v216, v117, s18, -v127
	v_add_f16_e32 v91, v104, v91
	v_fma_f16 v104, v122, s18, -v134
	v_add_f16_e32 v92, v99, v92
	v_add_f16_e32 v99, v192, v129
	v_add_f16_e32 v85, v98, v85
	v_sub_f16_e32 v98, v125, v191
	v_add_f16_e32 v82, v93, v82
	v_add_f16_e32 v93, v190, v119
	v_add_f16_e32 v79, v88, v79
	v_sub_f16_e32 v88, v126, v199
	;; [unrolled: 4-line block ×4, first 2 shown]
	v_add_f16_e32 v70, v73, v70
	v_add_f16_e32 v73, v204, v110
	;; [unrolled: 1-line block ×4, first 2 shown]
	v_mul_f16_e32 v210, 0x388b, v147
	v_mul_f16_e32 v212, 0xb5ac, v147
	v_add_f16_e32 v215, v216, v215
	v_fma_f16 v216, v128, s15, -v137
	v_add_f16_e32 v91, v104, v91
	v_fma_f16 v104, v133, s15, -v143
	v_add_f16_e32 v92, v99, v92
	v_add_f16_e32 v99, v202, v140
	v_add_f16_e32 v85, v98, v85
	v_sub_f16_e32 v98, v136, v201
	v_add_f16_e32 v82, v93, v82
	v_add_f16_e32 v93, v200, v130
	v_add_f16_e32 v79, v88, v79
	v_sub_f16_e32 v88, v139, v209
	;; [unrolled: 4-line block ×3, first 2 shown]
	v_add_f16_e32 v72, v77, v72
	v_add_f16_e32 v77, v206, v123
	;; [unrolled: 1-line block ×7, first 2 shown]
	v_fma_f16 v216, v138, s17, -v145
	v_add_f16_e32 v91, v104, v91
	v_fma_f16 v104, v142, s17, -v149
	v_add_f16_e32 v92, v99, v92
	v_add_f16_e32 v99, v212, v150
	;; [unrolled: 1-line block ×3, first 2 shown]
	v_sub_f16_e32 v98, v146, v211
	v_add_f16_e32 v82, v93, v82
	v_add_f16_e32 v93, v210, v141
	;; [unrolled: 1-line block ×6, first 2 shown]
	v_lshlrev_b32_e32 v21, 2, v38
	v_pack_b32_f16 v22, v70, v71
	v_pack_b32_f16 v19, v19, v20
	v_add_f16_e32 v215, v216, v215
	v_fma_f16 v216, v147, s16, -v152
	v_add_f16_e32 v91, v104, v91
	v_fma_f16 v104, v148, s16, -v153
	v_add_f16_e32 v92, v99, v92
	v_add_f16_e32 v85, v98, v85
	;; [unrolled: 1-line block ×3, first 2 shown]
	ds_write2_b32 v21, v19, v22 offset1:1
	v_pack_b32_f16 v19, v76, v79
	v_pack_b32_f16 v20, v72, v74
	v_add_f16_e32 v215, v216, v215
	v_add_f16_e32 v91, v104, v91
	ds_write2_b32 v21, v20, v19 offset0:2 offset1:3
	v_pack_b32_f16 v19, v92, v96
	v_pack_b32_f16 v20, v82, v85
	ds_write2_b32 v21, v20, v19 offset0:4 offset1:5
	v_pack_b32_f16 v19, v215, v214
	v_pack_b32_f16 v20, v87, v91
	s_mov_b32 s14, 0x5040100
	ds_write2_b32 v21, v20, v19 offset0:6 offset1:7
	v_perm_b32 v19, v66, v34, s14
	v_perm_b32 v20, v69, v31, s14
	ds_write2_b32 v21, v20, v19 offset0:8 offset1:9
	v_perm_b32 v19, v67, v32, s14
	v_perm_b32 v20, v68, v35, s14
	ds_write2_b32 v21, v20, v19 offset0:10 offset1:11
	v_perm_b32 v19, v65, v33, s14
	ds_write_b32 v21, v19 offset:48
.LBB0_17:
	s_or_b64 exec, exec, s[4:5]
	v_add_u32_e32 v21, 0x500, v36
	s_waitcnt lgkmcnt(0)
	s_barrier
	ds_read2_b32 v[21:22], v21 offset0:44 offset1:226
	v_add_u32_e32 v23, 0xb00, v36
	ds_read2_b32 v[23:24], v23 offset0:24 offset1:206
	v_add_u32_e32 v25, 0x1000, v36
	ds_read2_b32 v[25:26], v25 offset0:68 offset1:250
	s_waitcnt lgkmcnt(2)
	v_lshrrev_b32_e32 v28, 16, v21
	v_mul_f16_sdwa v54, v8, v28 dst_sel:DWORD dst_unused:UNUSED_PAD src0_sel:WORD_1 src1_sel:DWORD
	s_waitcnt lgkmcnt(1)
	v_lshrrev_b32_e32 v29, 16, v23
	v_fma_f16 v54, v8, v21, v54
	v_mul_f16_sdwa v21, v8, v21 dst_sel:DWORD dst_unused:UNUSED_PAD src0_sel:WORD_1 src1_sel:DWORD
	v_fma_f16 v8, v8, v28, -v21
	v_mul_f16_sdwa v21, v9, v29 dst_sel:DWORD dst_unused:UNUSED_PAD src0_sel:WORD_1 src1_sel:DWORD
	s_waitcnt lgkmcnt(0)
	v_lshrrev_b32_e32 v30, 16, v25
	v_fma_f16 v21, v9, v23, v21
	v_mul_f16_sdwa v23, v9, v23 dst_sel:DWORD dst_unused:UNUSED_PAD src0_sel:WORD_1 src1_sel:DWORD
	v_fma_f16 v9, v9, v29, -v23
	v_mul_f16_sdwa v23, v10, v30 dst_sel:DWORD dst_unused:UNUSED_PAD src0_sel:WORD_1 src1_sel:DWORD
	ds_read2_b32 v[19:20], v36 offset1:182
	v_lshrrev_b32_e32 v51, 16, v22
	v_fma_f16 v23, v10, v25, v23
	v_mul_f16_sdwa v25, v10, v25 dst_sel:DWORD dst_unused:UNUSED_PAD src0_sel:WORD_1 src1_sel:DWORD
	v_fma_f16 v10, v10, v30, -v25
	v_mul_f16_sdwa v25, v11, v51 dst_sel:DWORD dst_unused:UNUSED_PAD src0_sel:WORD_1 src1_sel:DWORD
	v_lshrrev_b32_e32 v52, 16, v24
	v_fma_f16 v25, v11, v22, v25
	v_mul_f16_sdwa v22, v11, v22 dst_sel:DWORD dst_unused:UNUSED_PAD src0_sel:WORD_1 src1_sel:DWORD
	v_fma_f16 v11, v11, v51, -v22
	v_mul_f16_sdwa v22, v12, v52 dst_sel:DWORD dst_unused:UNUSED_PAD src0_sel:WORD_1 src1_sel:DWORD
	v_lshrrev_b32_e32 v53, 16, v26
	v_fma_f16 v22, v12, v24, v22
	v_mul_f16_sdwa v24, v12, v24 dst_sel:DWORD dst_unused:UNUSED_PAD src0_sel:WORD_1 src1_sel:DWORD
	s_waitcnt lgkmcnt(0)
	v_lshrrev_b32_e32 v27, 16, v19
	v_fma_f16 v12, v12, v52, -v24
	v_mul_f16_sdwa v24, v13, v53 dst_sel:DWORD dst_unused:UNUSED_PAD src0_sel:WORD_1 src1_sel:DWORD
	v_fma_f16 v24, v13, v26, v24
	v_mul_f16_sdwa v26, v13, v26 dst_sel:DWORD dst_unused:UNUSED_PAD src0_sel:WORD_1 src1_sel:DWORD
	v_sub_f16_e32 v21, v19, v21
	v_sub_f16_e32 v9, v27, v9
	;; [unrolled: 1-line block ×3, first 2 shown]
	v_fma_f16 v13, v13, v53, -v26
	v_fma_f16 v19, v19, 2.0, -v21
	v_fma_f16 v26, v27, 2.0, -v9
	v_sub_f16_e32 v10, v8, v10
	v_fma_f16 v27, v54, 2.0, -v23
	v_lshrrev_b32_e32 v38, 16, v20
	v_fma_f16 v8, v8, 2.0, -v10
	v_sub_f16_e32 v27, v19, v27
	v_sub_f16_e32 v22, v20, v22
	;; [unrolled: 1-line block ×4, first 2 shown]
	v_fma_f16 v28, v19, 2.0, -v27
	v_add_f16_e32 v10, v21, v10
	v_sub_f16_e32 v23, v9, v23
	v_sub_f16_e32 v12, v38, v12
	v_fma_f16 v19, v20, 2.0, -v22
	v_sub_f16_e32 v13, v11, v13
	v_fma_f16 v25, v25, 2.0, -v24
	v_fma_f16 v26, v26, 2.0, -v8
	;; [unrolled: 1-line block ×6, first 2 shown]
	v_sub_f16_e32 v25, v19, v25
	v_add_f16_e32 v30, v22, v13
	v_sub_f16_e32 v11, v20, v11
	v_fma_f16 v29, v19, 2.0, -v25
	v_sub_f16_e32 v19, v12, v24
	v_fma_f16 v13, v22, 2.0, -v30
	v_pack_b32_f16 v22, v28, v26
	v_pack_b32_f16 v9, v21, v9
	v_fma_f16 v20, v20, 2.0, -v11
	v_fma_f16 v12, v12, 2.0, -v19
	s_barrier
	ds_write2_b32 v39, v22, v9 offset1:13
	v_pack_b32_f16 v8, v27, v8
	v_pack_b32_f16 v9, v10, v23
	ds_write2_b32 v39, v8, v9 offset0:26 offset1:39
	v_pack_b32_f16 v8, v29, v20
	v_pack_b32_f16 v9, v13, v12
	ds_write2_b32 v40, v8, v9 offset1:13
	v_pack_b32_f16 v8, v25, v11
	v_pack_b32_f16 v9, v30, v19
	v_add_u32_e32 v10, 0x600, v36
	ds_write2_b32 v40, v8, v9 offset0:26 offset1:39
	s_waitcnt lgkmcnt(0)
	s_barrier
	ds_read2_b32 v[12:13], v10 offset0:32 offset1:240
	v_add_u32_e32 v10, 0xd00, v36
	ds_read2_b32 v[8:9], v36 offset1:208
	ds_read2_b32 v[10:11], v10 offset1:208
	ds_read_b32 v20, v36 offset:4992
	s_and_saveexec_b64 s[4:5], s[2:3]
	s_cbranch_execz .LBB0_19
; %bb.18:
	v_add_u32_e32 v19, 0x280, v36
	ds_read2_b32 v[30:31], v19 offset0:22 offset1:230
	v_add_u32_e32 v19, 0x900, v36
	v_add_u32_e32 v21, 0xf80, v36
	ds_read2_b32 v[34:35], v19 offset0:22 offset1:230
	ds_read2_b32 v[32:33], v21 offset0:22 offset1:230
	ds_read_b32 v48, v36 offset:5720
	s_waitcnt lgkmcnt(3)
	v_lshrrev_b32_e32 v19, 16, v30
	v_lshrrev_b32_e32 v69, 16, v31
	s_waitcnt lgkmcnt(2)
	v_lshrrev_b32_e32 v66, 16, v34
	v_lshrrev_b32_e32 v68, 16, v35
	;; [unrolled: 3-line block ×3, first 2 shown]
	s_waitcnt lgkmcnt(0)
	v_lshrrev_b32_e32 v49, 16, v48
.LBB0_19:
	s_or_b64 exec, exec, s[4:5]
	s_waitcnt lgkmcnt(2)
	v_lshrrev_b32_e32 v21, 16, v9
	v_mul_f16_sdwa v27, v4, v21 dst_sel:DWORD dst_unused:UNUSED_PAD src0_sel:WORD_1 src1_sel:DWORD
	v_lshrrev_b32_e32 v22, 16, v12
	v_fma_f16 v27, v4, v9, v27
	v_mul_f16_sdwa v9, v4, v9 dst_sel:DWORD dst_unused:UNUSED_PAD src0_sel:WORD_1 src1_sel:DWORD
	v_fma_f16 v4, v4, v21, -v9
	v_mul_f16_sdwa v9, v5, v22 dst_sel:DWORD dst_unused:UNUSED_PAD src0_sel:WORD_1 src1_sel:DWORD
	v_lshrrev_b32_e32 v23, 16, v13
	v_fma_f16 v9, v5, v12, v9
	v_mul_f16_sdwa v12, v5, v12 dst_sel:DWORD dst_unused:UNUSED_PAD src0_sel:WORD_1 src1_sel:DWORD
	v_fma_f16 v5, v5, v22, -v12
	v_mul_f16_sdwa v12, v6, v23 dst_sel:DWORD dst_unused:UNUSED_PAD src0_sel:WORD_1 src1_sel:DWORD
	s_waitcnt lgkmcnt(1)
	v_lshrrev_b32_e32 v24, 16, v10
	v_fma_f16 v12, v6, v13, v12
	v_mul_f16_sdwa v13, v6, v13 dst_sel:DWORD dst_unused:UNUSED_PAD src0_sel:WORD_1 src1_sel:DWORD
	v_fma_f16 v6, v6, v23, -v13
	v_mul_f16_sdwa v13, v7, v24 dst_sel:DWORD dst_unused:UNUSED_PAD src0_sel:WORD_1 src1_sel:DWORD
	v_lshrrev_b32_e32 v25, 16, v11
	v_fma_f16 v13, v7, v10, v13
	v_mul_f16_sdwa v10, v7, v10 dst_sel:DWORD dst_unused:UNUSED_PAD src0_sel:WORD_1 src1_sel:DWORD
	v_fma_f16 v7, v7, v24, -v10
	v_mul_f16_sdwa v10, v17, v25 dst_sel:DWORD dst_unused:UNUSED_PAD src0_sel:WORD_1 src1_sel:DWORD
	s_waitcnt lgkmcnt(0)
	v_lshrrev_b32_e32 v26, 16, v20
	v_fma_f16 v10, v17, v11, v10
	v_mul_f16_sdwa v11, v17, v11 dst_sel:DWORD dst_unused:UNUSED_PAD src0_sel:WORD_1 src1_sel:DWORD
	v_fma_f16 v11, v17, v25, -v11
	v_mul_f16_sdwa v17, v18, v26 dst_sel:DWORD dst_unused:UNUSED_PAD src0_sel:WORD_1 src1_sel:DWORD
	v_fma_f16 v17, v18, v20, v17
	v_mul_f16_sdwa v20, v18, v20 dst_sel:DWORD dst_unused:UNUSED_PAD src0_sel:WORD_1 src1_sel:DWORD
	v_fma_f16 v18, v18, v26, -v20
	v_add_f16_e32 v20, v27, v17
	v_add_f16_e32 v21, v4, v18
	v_sub_f16_e32 v4, v4, v18
	v_add_f16_e32 v18, v9, v10
	v_add_f16_e32 v22, v5, v11
	v_sub_f16_e32 v9, v9, v10
	v_sub_f16_e32 v5, v5, v11
	v_add_f16_e32 v10, v12, v13
	v_add_f16_e32 v11, v6, v7
	v_sub_f16_e32 v12, v13, v12
	;; [unrolled: 4-line block ×3, first 2 shown]
	v_sub_f16_e32 v23, v18, v20
	v_sub_f16_e32 v24, v22, v21
	;; [unrolled: 1-line block ×6, first 2 shown]
	v_add_f16_e32 v25, v12, v9
	v_add_f16_e32 v26, v6, v5
	v_sub_f16_e32 v27, v12, v9
	v_sub_f16_e32 v28, v6, v5
	v_add_f16_e32 v7, v10, v7
	v_add_f16_e32 v10, v11, v13
	v_sub_f16_e32 v12, v17, v12
	v_sub_f16_e32 v6, v4, v6
	v_sub_f16_e32 v9, v9, v17
	v_sub_f16_e32 v5, v5, v4
	v_add_f16_e32 v11, v25, v17
	v_add_f16_e32 v4, v26, v4
	;; [unrolled: 1-line block ×3, first 2 shown]
	v_add_f16_sdwa v8, v8, v10 dst_sel:DWORD dst_unused:UNUSED_PAD src0_sel:WORD_1 src1_sel:DWORD
	v_mul_f16_e32 v17, 0x3a52, v20
	v_mul_f16_e32 v20, 0x3a52, v21
	s_movk_i32 s19, 0x2b26
	v_mul_f16_e32 v21, 0x2b26, v18
	v_mul_f16_e32 v25, 0x2b26, v22
	;; [unrolled: 1-line block ×4, first 2 shown]
	s_mov_b32 s20, 0xbcab
	s_movk_i32 s15, 0x39e0
	s_mov_b32 s16, 0xb9e0
	s_mov_b32 s21, 0xb574
	;; [unrolled: 1-line block ×3, first 2 shown]
	v_mul_f16_e32 v28, 0xbb00, v9
	v_mul_f16_e32 v29, 0xbb00, v5
	v_fma_f16 v7, v7, s20, v13
	v_fma_f16 v10, v10, s20, v8
	;; [unrolled: 1-line block ×4, first 2 shown]
	v_fma_f16 v21, v23, s15, -v21
	v_fma_f16 v25, v24, s15, -v25
	;; [unrolled: 1-line block ×4, first 2 shown]
	v_fma_f16 v23, v12, s21, v26
	v_fma_f16 v24, v6, s21, v27
	s_movk_i32 s17, 0x3574
	s_mov_b32 s18, 0xb70e
	v_fma_f16 v9, v9, s14, -v26
	v_fma_f16 v5, v5, s14, -v27
	;; [unrolled: 1-line block ×4, first 2 shown]
	v_add_f16_e32 v18, v18, v7
	v_add_f16_e32 v22, v22, v10
	;; [unrolled: 1-line block ×6, first 2 shown]
	v_fma_f16 v17, v11, s18, v23
	v_fma_f16 v20, v4, s18, v24
	;; [unrolled: 1-line block ×6, first 2 shown]
	v_add_f16_e32 v6, v20, v18
	v_sub_f16_e32 v12, v22, v17
	v_add_f16_e32 v23, v4, v7
	v_sub_f16_e32 v24, v10, v11
	v_sub_f16_e32 v26, v21, v5
	v_add_f16_e32 v27, v9, v25
	v_pack_b32_f16 v8, v13, v8
	v_pack_b32_f16 v6, v6, v12
	v_add_f16_e32 v5, v5, v21
	v_sub_f16_e32 v9, v25, v9
	v_sub_f16_e32 v4, v7, v4
	v_add_f16_e32 v7, v11, v10
	s_barrier
	ds_write2_b32 v50, v8, v6 offset1:52
	v_pack_b32_f16 v6, v23, v24
	v_pack_b32_f16 v8, v26, v27
	v_sub_f16_e32 v10, v18, v20
	v_add_f16_e32 v11, v17, v22
	ds_write2_b32 v50, v6, v8 offset0:104 offset1:156
	v_pack_b32_f16 v5, v5, v9
	v_pack_b32_f16 v4, v4, v7
	v_add_u32_e32 v6, 0x200, v50
	ds_write2_b32 v6, v5, v4 offset0:80 offset1:132
	v_pack_b32_f16 v4, v10, v11
	ds_write_b32 v50, v4 offset:1248
	s_and_saveexec_b64 s[4:5], s[2:3]
	s_cbranch_execz .LBB0_21
; %bb.20:
	v_mul_f16_sdwa v5, v16, v49 dst_sel:DWORD dst_unused:UNUSED_PAD src0_sel:WORD_1 src1_sel:DWORD
	v_mul_f16_sdwa v8, v2, v68 dst_sel:DWORD dst_unused:UNUSED_PAD src0_sel:WORD_1 src1_sel:DWORD
	;; [unrolled: 1-line block ×7, first 2 shown]
	v_fma_f16 v5, v16, v48, v5
	v_mul_f16_sdwa v7, v3, v67 dst_sel:DWORD dst_unused:UNUSED_PAD src0_sel:WORD_1 src1_sel:DWORD
	v_fma_f16 v8, v2, v35, v8
	v_mul_f16_sdwa v11, v1, v66 dst_sel:DWORD dst_unused:UNUSED_PAD src0_sel:WORD_1 src1_sel:DWORD
	v_fma_f16 v12, v15, v33, v12
	v_fma_f16 v16, v16, v49, -v20
	v_mul_f16_sdwa v20, v0, v31 dst_sel:DWORD dst_unused:UNUSED_PAD src0_sel:WORD_1 src1_sel:DWORD
	v_fma_f16 v2, v2, v68, -v21
	v_mul_f16_sdwa v21, v3, v32 dst_sel:DWORD dst_unused:UNUSED_PAD src0_sel:WORD_1 src1_sel:DWORD
	;; [unrolled: 2-line block ×3, first 2 shown]
	v_fma_f16 v4, v0, v31, v4
	v_fma_f16 v7, v3, v32, v7
	;; [unrolled: 1-line block ×3, first 2 shown]
	v_fma_f16 v0, v0, v69, -v20
	v_fma_f16 v3, v3, v67, -v21
	;; [unrolled: 1-line block ×3, first 2 shown]
	v_sub_f16_e32 v6, v4, v5
	v_sub_f16_e32 v9, v7, v8
	;; [unrolled: 1-line block ×3, first 2 shown]
	v_add_f16_e32 v20, v16, v0
	v_add_f16_e32 v21, v2, v3
	;; [unrolled: 1-line block ×3, first 2 shown]
	v_sub_f16_e32 v0, v0, v16
	v_sub_f16_e32 v2, v3, v2
	;; [unrolled: 1-line block ×5, first 2 shown]
	v_add_f16_e32 v9, v9, v13
	v_add_f16_e32 v4, v5, v4
	;; [unrolled: 1-line block ×4, first 2 shown]
	v_sub_f16_e32 v3, v0, v2
	v_sub_f16_e32 v15, v2, v1
	v_add_f16_e32 v2, v2, v1
	v_add_f16_e32 v9, v9, v6
	v_add_f16_e32 v26, v23, v20
	v_add_f16_e32 v27, v8, v4
	v_add_f16_e32 v2, v2, v0
	v_sub_f16_e32 v6, v13, v6
	v_sub_f16_e32 v0, v1, v0
	v_mul_f16_e32 v17, 0x3846, v17
	v_sub_f16_e32 v22, v20, v21
	v_sub_f16_e32 v24, v21, v23
	v_add_f16_e32 v21, v21, v26
	v_sub_f16_e32 v7, v4, v5
	v_sub_f16_e32 v11, v5, v8
	v_add_f16_e32 v5, v5, v27
	v_mul_f16_e32 v15, 0x3846, v15
	v_mul_f16_e32 v13, 0xbb00, v6
	;; [unrolled: 1-line block ×3, first 2 shown]
	v_fma_f16 v18, v10, s21, v17
	v_mul_f16_e32 v22, 0x3a52, v22
	v_mul_f16_e32 v25, 0x2b26, v24
	v_add_f16_e32 v19, v19, v21
	v_mul_f16_e32 v7, 0x3a52, v7
	v_mul_f16_e32 v12, 0x2b26, v11
	v_add_f16_e32 v27, v30, v5
	v_fma_f16 v16, v3, s21, v15
	v_fma_f16 v10, v10, s17, -v13
	v_sub_f16_e32 v13, v23, v20
	v_sub_f16_e32 v4, v8, v4
	v_fma_f16 v1, v3, s17, -v1
	v_fma_f16 v0, v0, s14, -v15
	v_fma_f16 v24, v24, s19, v22
	v_fma_f16 v21, v21, s20, v19
	;; [unrolled: 1-line block ×5, first 2 shown]
	v_fma_f16 v20, v13, s16, -v22
	v_fma_f16 v7, v4, s16, -v7
	v_fma_f16 v1, v2, s18, v1
	v_fma_f16 v8, v13, s15, -v25
	v_fma_f16 v6, v6, s14, -v17
	v_fma_f16 v0, v2, s18, v0
	v_fma_f16 v2, v4, s15, -v12
	v_fma_f16 v18, v9, s18, v18
	v_add_f16_e32 v24, v24, v21
	v_add_f16_e32 v11, v11, v5
	v_fma_f16 v10, v9, s18, v10
	v_add_f16_e32 v20, v20, v21
	v_add_f16_e32 v7, v7, v5
	;; [unrolled: 1-line block ×3, first 2 shown]
	v_fma_f16 v6, v9, s18, v6
	v_add_f16_e32 v2, v2, v5
	v_sub_f16_e32 v3, v7, v1
	v_sub_f16_e32 v9, v8, v6
	v_add_f16_e32 v4, v0, v2
	v_add_f16_e32 v5, v6, v8
	v_sub_f16_e32 v0, v2, v0
	v_sub_f16_e32 v2, v20, v10
	v_add_f16_e32 v1, v1, v7
	v_sub_f16_e32 v6, v24, v18
	v_add_f16_e32 v7, v16, v11
	v_add_f16_e32 v22, v10, v20
	v_pack_b32_f16 v6, v7, v6
	v_add_u32_e32 v7, 0x1000, v41
	v_pack_b32_f16 v1, v1, v2
	v_pack_b32_f16 v0, v0, v5
	v_add_f16_e32 v26, v18, v24
	v_sub_f16_e32 v28, v11, v16
	ds_write2_b32 v7, v1, v0 offset0:172 offset1:224
	v_pack_b32_f16 v0, v4, v9
	v_pack_b32_f16 v1, v3, v22
	v_add_u32_e32 v2, 0x1400, v41
	v_pack_b32_f16 v8, v27, v19
	ds_write2_b32 v2, v0, v1 offset0:20 offset1:72
	v_pack_b32_f16 v0, v28, v26
	ds_write2_b32 v7, v8, v6 offset0:68 offset1:120
	ds_write_b32 v41, v0 offset:5616
.LBB0_21:
	s_or_b64 exec, exec, s[4:5]
	v_add_u32_e32 v8, 0xb00, v36
	s_waitcnt lgkmcnt(0)
	s_barrier
	ds_read2_b32 v[2:3], v8 offset0:24 offset1:206
	v_add_u32_e32 v11, 0x1000, v36
	ds_read2_b32 v[6:7], v11 offset0:68 offset1:250
	ds_read2_b32 v[0:1], v36 offset1:182
	v_add_u32_e32 v10, 0x500, v36
	s_waitcnt lgkmcnt(2)
	v_lshrrev_b32_e32 v12, 16, v2
	v_mul_f16_sdwa v20, v42, v12 dst_sel:DWORD dst_unused:UNUSED_PAD src0_sel:WORD_1 src1_sel:DWORD
	v_lshrrev_b32_e32 v15, 16, v3
	v_fma_f16 v20, v42, v2, v20
	v_mul_f16_sdwa v2, v42, v2 dst_sel:DWORD dst_unused:UNUSED_PAD src0_sel:WORD_1 src1_sel:DWORD
	v_fma_f16 v2, v42, v12, -v2
	v_mul_f16_sdwa v12, v43, v15 dst_sel:DWORD dst_unused:UNUSED_PAD src0_sel:WORD_1 src1_sel:DWORD
	s_waitcnt lgkmcnt(1)
	v_lshrrev_b32_e32 v17, 16, v6
	v_fma_f16 v12, v43, v3, v12
	v_mul_f16_sdwa v3, v43, v3 dst_sel:DWORD dst_unused:UNUSED_PAD src0_sel:WORD_1 src1_sel:DWORD
	ds_read2_b32 v[4:5], v10 offset0:44 offset1:226
	v_fma_f16 v3, v43, v15, -v3
	v_mul_f16_sdwa v15, v42, v17 dst_sel:DWORD dst_unused:UNUSED_PAD src0_sel:WORD_1 src1_sel:DWORD
	v_lshrrev_b32_e32 v19, 16, v7
	v_fma_f16 v15, v42, v6, v15
	v_mul_f16_sdwa v6, v42, v6 dst_sel:DWORD dst_unused:UNUSED_PAD src0_sel:WORD_1 src1_sel:DWORD
	v_fma_f16 v6, v42, v17, -v6
	v_mul_f16_sdwa v17, v43, v19 dst_sel:DWORD dst_unused:UNUSED_PAD src0_sel:WORD_1 src1_sel:DWORD
	s_waitcnt lgkmcnt(1)
	v_lshrrev_b32_e32 v9, 16, v0
	v_lshrrev_b32_e32 v13, 16, v1
	v_fma_f16 v17, v43, v7, v17
	v_mul_f16_sdwa v7, v43, v7 dst_sel:DWORD dst_unused:UNUSED_PAD src0_sel:WORD_1 src1_sel:DWORD
	v_fma_f16 v7, v43, v19, -v7
	v_sub_f16_e32 v19, v0, v20
	v_sub_f16_e32 v2, v9, v2
	;; [unrolled: 1-line block ×4, first 2 shown]
	s_waitcnt lgkmcnt(0)
	v_lshrrev_b32_e32 v16, 16, v4
	v_lshrrev_b32_e32 v18, 16, v5
	v_fma_f16 v0, v0, 2.0, -v19
	v_fma_f16 v9, v9, 2.0, -v2
	;; [unrolled: 1-line block ×4, first 2 shown]
	v_sub_f16_e32 v15, v4, v15
	v_sub_f16_e32 v6, v16, v6
	;; [unrolled: 1-line block ×4, first 2 shown]
	v_pack_b32_f16 v0, v0, v9
	v_pack_b32_f16 v1, v1, v13
	v_fma_f16 v4, v4, 2.0, -v15
	v_fma_f16 v16, v16, 2.0, -v6
	;; [unrolled: 1-line block ×4, first 2 shown]
	s_barrier
	v_pack_b32_f16 v2, v19, v2
	ds_write2_b32 v36, v0, v1 offset1:182
	v_pack_b32_f16 v0, v12, v3
	ds_write2_b32 v10, v2, v0 offset0:44 offset1:226
	v_pack_b32_f16 v0, v4, v16
	v_pack_b32_f16 v2, v5, v18
	;; [unrolled: 1-line block ×3, first 2 shown]
	ds_write2_b32 v8, v0, v2 offset0:24 offset1:206
	v_pack_b32_f16 v0, v17, v7
	ds_write2_b32 v11, v1, v0 offset0:68 offset1:250
	s_waitcnt lgkmcnt(0)
	s_barrier
	ds_read2_b32 v[0:1], v36 offset1:182
	ds_read2_b32 v[2:3], v8 offset0:24 offset1:206
	ds_read2_b32 v[4:5], v10 offset0:44 offset1:226
	;; [unrolled: 1-line block ×3, first 2 shown]
	s_movk_i32 s19, 0x1000
	s_waitcnt lgkmcnt(3)
	v_lshrrev_b32_e32 v9, 16, v0
	s_waitcnt lgkmcnt(2)
	v_lshrrev_b32_e32 v12, 16, v2
	v_mul_f16_sdwa v20, v44, v12 dst_sel:DWORD dst_unused:UNUSED_PAD src0_sel:WORD_1 src1_sel:DWORD
	v_lshrrev_b32_e32 v15, 16, v3
	v_fma_f16 v20, v44, v2, v20
	v_mul_f16_sdwa v2, v44, v2 dst_sel:DWORD dst_unused:UNUSED_PAD src0_sel:WORD_1 src1_sel:DWORD
	v_fma_f16 v2, v44, v12, -v2
	v_mul_f16_sdwa v12, v45, v15 dst_sel:DWORD dst_unused:UNUSED_PAD src0_sel:WORD_1 src1_sel:DWORD
	s_waitcnt lgkmcnt(0)
	v_lshrrev_b32_e32 v17, 16, v6
	v_fma_f16 v12, v45, v3, v12
	v_mul_f16_sdwa v3, v45, v3 dst_sel:DWORD dst_unused:UNUSED_PAD src0_sel:WORD_1 src1_sel:DWORD
	v_fma_f16 v3, v45, v15, -v3
	v_mul_f16_sdwa v15, v46, v17 dst_sel:DWORD dst_unused:UNUSED_PAD src0_sel:WORD_1 src1_sel:DWORD
	v_lshrrev_b32_e32 v19, 16, v7
	v_fma_f16 v15, v46, v6, v15
	v_mul_f16_sdwa v6, v46, v6 dst_sel:DWORD dst_unused:UNUSED_PAD src0_sel:WORD_1 src1_sel:DWORD
	v_fma_f16 v6, v46, v17, -v6
	v_mul_f16_sdwa v17, v47, v19 dst_sel:DWORD dst_unused:UNUSED_PAD src0_sel:WORD_1 src1_sel:DWORD
	v_lshrrev_b32_e32 v13, 16, v1
	v_fma_f16 v17, v47, v7, v17
	v_mul_f16_sdwa v7, v47, v7 dst_sel:DWORD dst_unused:UNUSED_PAD src0_sel:WORD_1 src1_sel:DWORD
	v_fma_f16 v7, v47, v19, -v7
	v_sub_f16_e32 v19, v0, v20
	v_sub_f16_e32 v2, v9, v2
	;; [unrolled: 1-line block ×4, first 2 shown]
	v_lshrrev_b32_e32 v16, 16, v4
	v_lshrrev_b32_e32 v18, 16, v5
	v_fma_f16 v0, v0, 2.0, -v19
	v_fma_f16 v9, v9, 2.0, -v2
	;; [unrolled: 1-line block ×4, first 2 shown]
	v_sub_f16_e32 v15, v4, v15
	v_sub_f16_e32 v6, v16, v6
	;; [unrolled: 1-line block ×4, first 2 shown]
	v_pack_b32_f16 v0, v0, v9
	v_pack_b32_f16 v1, v1, v13
	v_fma_f16 v4, v4, 2.0, -v15
	v_fma_f16 v16, v16, 2.0, -v6
	;; [unrolled: 1-line block ×4, first 2 shown]
	v_pack_b32_f16 v2, v19, v2
	ds_write2_b32 v36, v0, v1 offset1:182
	v_pack_b32_f16 v0, v12, v3
	ds_write2_b32 v8, v2, v0 offset0:24 offset1:206
	v_pack_b32_f16 v0, v4, v16
	v_pack_b32_f16 v2, v5, v18
	;; [unrolled: 1-line block ×3, first 2 shown]
	ds_write2_b32 v10, v0, v2 offset0:44 offset1:226
	v_pack_b32_f16 v0, v17, v7
	ds_write2_b32 v11, v1, v0 offset0:68 offset1:250
	s_waitcnt lgkmcnt(0)
	s_barrier
	s_and_b64 exec, exec, s[0:1]
	s_cbranch_execz .LBB0_23
; %bb.22:
	global_load_dword v11, v36, s[6:7]
	global_load_dword v10, v36, s[6:7] offset:448
	ds_read_b32 v17, v36
	v_mad_u64_u32 v[2:3], s[0:1], s10, v14, 0
	v_mad_u64_u32 v[4:5], s[0:1], s8, v37, 0
	s_waitcnt lgkmcnt(0)
	v_lshrrev_b32_e32 v18, 16, v17
	s_mov_b32 s14, 0x16816817
	s_mov_b32 s15, 0x3f468168
	v_mov_b32_e32 v8, s7
	s_movk_i32 s18, 0x1ff
	ds_read2_b32 v[0:1], v36 offset0:112 offset1:224
	global_load_dword v12, v36, s[6:7] offset:896
	global_load_dword v13, v36, s[6:7] offset:1344
	;; [unrolled: 1-line block ×5, first 2 shown]
	v_add_co_u32_e32 v7, vcc, s6, v36
	v_addc_co_u32_e32 v8, vcc, 0, v8, vcc
	v_mov_b32_e32 v6, 0x7c00
	s_movk_i32 s17, 0xffe
	v_mad_u64_u32 v[22:23], s[0:1], s9, v37, v[5:6]
	s_movk_i32 s16, 0x40f
	s_mov_b32 s10, 0x8000
	s_waitcnt vmcnt(6)
	v_mul_f16_sdwa v19, v18, v11 dst_sel:DWORD dst_unused:UNUSED_PAD src0_sel:DWORD src1_sel:WORD_1
	v_fma_f16 v19, v17, v11, v19
	v_mul_f16_sdwa v17, v17, v11 dst_sel:DWORD dst_unused:UNUSED_PAD src0_sel:DWORD src1_sel:WORD_1
	v_cvt_f32_f16_e32 v19, v19
	v_fma_f16 v11, v11, v18, -v17
	v_cvt_f32_f16_e32 v11, v11
	v_cvt_f64_f32_e32 v[17:18], v19
	v_mad_u64_u32 v[19:20], s[0:1], s11, v14, v[3:4]
	v_cvt_f64_f32_e32 v[20:21], v11
	v_mul_f64 v[17:18], v[17:18], s[14:15]
	v_mov_b32_e32 v3, v19
	s_waitcnt lgkmcnt(0)
	v_lshrrev_b32_e32 v11, 16, v0
	v_mul_f64 v[20:21], v[20:21], s[14:15]
	s_waitcnt vmcnt(5)
	v_mul_f16_sdwa v5, v11, v10 dst_sel:DWORD dst_unused:UNUSED_PAD src0_sel:DWORD src1_sel:WORD_1
	v_fma_f16 v5, v0, v10, v5
	v_lshlrev_b64 v[2:3], 2, v[2:3]
	v_mul_f16_sdwa v0, v0, v10 dst_sel:DWORD dst_unused:UNUSED_PAD src0_sel:DWORD src1_sel:WORD_1
	v_and_or_b32 v14, v18, s18, v17
	v_cmp_ne_u32_e32 vcc, 0, v14
	v_lshrrev_b32_e32 v17, 8, v18
	v_and_or_b32 v20, v21, s18, v20
	v_bfe_u32 v19, v18, 20, 11
	v_cndmask_b32_e64 v14, 0, 1, vcc
	v_cmp_ne_u32_e32 vcc, 0, v20
	v_lshrrev_b32_e32 v23, 8, v21
	v_bfe_u32 v24, v21, 20, 11
	v_sub_u32_e32 v25, 0x3f1, v19
	v_cndmask_b32_e64 v20, 0, 1, vcc
	v_and_or_b32 v14, v17, s17, v14
	v_sub_u32_e32 v26, 0x3f1, v24
	v_med3_i32 v17, v25, 0, 13
	v_and_or_b32 v20, v23, s17, v20
	v_or_b32_e32 v25, 0x1000, v14
	v_add_u32_e32 v19, 0xfffffc10, v19
	v_med3_i32 v23, v26, 0, 13
	v_cmp_ne_u32_e32 vcc, 0, v14
	v_or_b32_e32 v27, 0x1000, v20
	v_lshrrev_b32_e32 v29, v17, v25
	v_add_u32_e32 v24, 0xfffffc10, v24
	v_lshl_or_b32 v26, v19, 12, v14
	v_cndmask_b32_e64 v14, 0, 1, vcc
	v_cmp_ne_u32_e32 vcc, 0, v20
	v_lshrrev_b32_e32 v30, v23, v27
	v_lshlrev_b32_e32 v17, v17, v29
	v_lshl_or_b32 v28, v24, 12, v20
	v_cndmask_b32_e64 v20, 0, 1, vcc
	v_lshlrev_b32_e32 v23, v23, v30
	v_cmp_ne_u32_e32 vcc, v17, v25
	v_cndmask_b32_e64 v17, 0, 1, vcc
	v_cmp_ne_u32_e32 vcc, v23, v27
	v_cndmask_b32_e64 v23, 0, 1, vcc
	v_or_b32_e32 v17, v29, v17
	v_cmp_gt_i32_e32 vcc, 1, v19
	v_cndmask_b32_e32 v17, v26, v17, vcc
	v_or_b32_e32 v23, v30, v23
	v_cmp_gt_i32_e32 vcc, 1, v24
	v_and_b32_e32 v25, 7, v17
	v_cndmask_b32_e32 v23, v28, v23, vcc
	v_cmp_lt_i32_e32 vcc, 5, v25
	v_cmp_eq_u32_e64 s[0:1], 3, v25
	v_lshrrev_b32_e32 v17, 2, v17
	v_and_b32_e32 v26, 7, v23
	s_or_b64 vcc, s[0:1], vcc
	v_cmp_lt_i32_e64 s[2:3], 5, v26
	v_cmp_eq_u32_e64 s[4:5], 3, v26
	v_addc_co_u32_e32 v17, vcc, 0, v17, vcc
	v_lshrrev_b32_e32 v23, 2, v23
	s_or_b64 vcc, s[4:5], s[2:3]
	v_addc_co_u32_e32 v23, vcc, 0, v23, vcc
	v_cmp_gt_i32_e32 vcc, 31, v19
	v_cndmask_b32_e32 v17, v6, v17, vcc
	v_cmp_gt_i32_e32 vcc, 31, v24
	v_lshl_or_b32 v14, v14, 9, v6
	v_cndmask_b32_e32 v23, v6, v23, vcc
	v_cmp_eq_u32_e32 vcc, s16, v19
	v_lshrrev_b32_e32 v18, 16, v18
	v_cndmask_b32_e32 v14, v17, v14, vcc
	v_and_or_b32 v14, v18, s10, v14
	v_cvt_f32_f16_e32 v18, v5
	v_lshl_or_b32 v20, v20, 9, v6
	v_cmp_eq_u32_e32 vcc, s16, v24
	v_lshrrev_b32_e32 v21, 16, v21
	v_cndmask_b32_e32 v17, v23, v20, vcc
	v_and_or_b32 v19, v21, s10, v17
	v_cvt_f64_f32_e32 v[17:18], v18
	v_mov_b32_e32 v5, v22
	v_and_b32_e32 v14, 0xffff, v14
	v_lshl_or_b32 v14, v19, 16, v14
	v_mul_f64 v[17:18], v[17:18], s[14:15]
	v_mov_b32_e32 v19, s13
	v_add_co_u32_e32 v2, vcc, s12, v2
	v_lshlrev_b64 v[4:5], 2, v[4:5]
	v_addc_co_u32_e32 v3, vcc, v19, v3, vcc
	v_add_co_u32_e32 v4, vcc, v2, v4
	v_addc_co_u32_e32 v5, vcc, v3, v5, vcc
	global_store_dword v[4:5], v14, off
	v_and_or_b32 v14, v18, s18, v17
	v_cmp_ne_u32_e32 vcc, 0, v14
	v_fma_f16 v0, v10, v11, -v0
	v_cndmask_b32_e64 v14, 0, 1, vcc
	v_lshrrev_b32_e32 v17, 8, v18
	v_bfe_u32 v19, v18, 20, 11
	v_cvt_f32_f16_e32 v0, v0
	v_and_or_b32 v14, v17, s17, v14
	v_sub_u32_e32 v20, 0x3f1, v19
	v_or_b32_e32 v17, 0x1000, v14
	v_med3_i32 v20, v20, 0, 13
	v_lshrrev_b32_e32 v21, v20, v17
	v_lshlrev_b32_e32 v20, v20, v21
	v_cvt_f64_f32_e32 v[10:11], v0
	v_cmp_ne_u32_e32 vcc, v20, v17
	v_cndmask_b32_e64 v17, 0, 1, vcc
	v_add_u32_e32 v19, 0xfffffc10, v19
	v_or_b32_e32 v17, v21, v17
	v_lshl_or_b32 v20, v19, 12, v14
	v_cmp_gt_i32_e32 vcc, 1, v19
	v_cndmask_b32_e32 v17, v20, v17, vcc
	v_mul_f64 v[10:11], v[10:11], s[14:15]
	v_and_b32_e32 v20, 7, v17
	v_cmp_lt_i32_e32 vcc, 5, v20
	v_cmp_eq_u32_e64 s[0:1], 3, v20
	v_lshrrev_b32_e32 v17, 2, v17
	s_or_b64 vcc, s[0:1], vcc
	v_addc_co_u32_e32 v0, vcc, 0, v17, vcc
	v_cmp_gt_i32_e32 vcc, 31, v19
	v_cndmask_b32_e32 v0, v6, v0, vcc
	v_cmp_ne_u32_e32 vcc, 0, v14
	v_cndmask_b32_e64 v14, 0, 1, vcc
	v_lshl_or_b32 v14, v14, 9, v6
	v_cmp_eq_u32_e32 vcc, s16, v19
	v_and_or_b32 v10, v11, s18, v10
	v_cndmask_b32_e32 v0, v0, v14, vcc
	v_lshrrev_b32_e32 v14, 16, v18
	v_cmp_ne_u32_e32 vcc, 0, v10
	v_and_or_b32 v0, v14, s10, v0
	v_cndmask_b32_e64 v10, 0, 1, vcc
	v_lshrrev_b32_e32 v14, 8, v11
	v_bfe_u32 v17, v11, 20, 11
	v_and_or_b32 v10, v14, s17, v10
	v_sub_u32_e32 v18, 0x3f1, v17
	v_or_b32_e32 v14, 0x1000, v10
	v_med3_i32 v18, v18, 0, 13
	v_lshrrev_b32_e32 v19, v18, v14
	v_lshlrev_b32_e32 v18, v18, v19
	v_cmp_ne_u32_e32 vcc, v18, v14
	v_cndmask_b32_e64 v14, 0, 1, vcc
	v_add_u32_e32 v17, 0xfffffc10, v17
	v_or_b32_e32 v14, v19, v14
	v_lshl_or_b32 v18, v17, 12, v10
	v_cmp_gt_i32_e32 vcc, 1, v17
	v_cndmask_b32_e32 v14, v18, v14, vcc
	v_and_b32_e32 v18, 7, v14
	v_cmp_lt_i32_e32 vcc, 5, v18
	v_cmp_eq_u32_e64 s[0:1], 3, v18
	v_lshrrev_b32_e32 v14, 2, v14
	s_or_b64 vcc, s[0:1], vcc
	v_addc_co_u32_e32 v14, vcc, 0, v14, vcc
	v_cmp_gt_i32_e32 vcc, 31, v17
	v_cndmask_b32_e32 v14, v6, v14, vcc
	v_cmp_ne_u32_e32 vcc, 0, v10
	v_cndmask_b32_e64 v10, 0, 1, vcc
	v_lshl_or_b32 v10, v10, 9, v6
	v_cmp_eq_u32_e32 vcc, s16, v17
	v_cndmask_b32_e32 v10, v14, v10, vcc
	v_lshrrev_b32_e32 v14, 16, v1
	s_waitcnt vmcnt(5)
	v_mul_f16_sdwa v17, v14, v12 dst_sel:DWORD dst_unused:UNUSED_PAD src0_sel:DWORD src1_sel:WORD_1
	v_fma_f16 v17, v1, v12, v17
	v_cvt_f32_f16_e32 v17, v17
	v_lshrrev_b32_e32 v11, 16, v11
	v_and_or_b32 v10, v11, s10, v10
	v_and_b32_e32 v0, 0xffff, v0
	v_lshl_or_b32 v0, v10, 16, v0
	v_cvt_f64_f32_e32 v[10:11], v17
	s_mul_i32 s0, s9, 0x1c0
	s_mul_hi_u32 s2, s8, 0x1c0
	s_add_i32 s2, s2, s0
	v_mul_f64 v[10:11], v[10:11], s[14:15]
	s_mul_i32 s3, s8, 0x1c0
	v_mov_b32_e32 v17, s2
	v_add_co_u32_e32 v4, vcc, s3, v4
	v_addc_co_u32_e32 v5, vcc, v5, v17, vcc
	global_store_dword v[4:5], v0, off
	v_and_or_b32 v0, v11, s18, v10
	v_cmp_ne_u32_e32 vcc, 0, v0
	v_cndmask_b32_e64 v0, 0, 1, vcc
	v_lshrrev_b32_e32 v10, 8, v11
	v_bfe_u32 v17, v11, 20, 11
	v_and_or_b32 v10, v10, s17, v0
	v_sub_u32_e32 v18, 0x3f1, v17
	v_or_b32_e32 v0, 0x1000, v10
	v_med3_i32 v18, v18, 0, 13
	v_lshrrev_b32_e32 v19, v18, v0
	v_mul_f16_sdwa v1, v1, v12 dst_sel:DWORD dst_unused:UNUSED_PAD src0_sel:DWORD src1_sel:WORD_1
	v_lshlrev_b32_e32 v18, v18, v19
	v_fma_f16 v1, v12, v14, -v1
	v_cmp_ne_u32_e32 vcc, v18, v0
	v_cvt_f32_f16_e32 v1, v1
	v_cndmask_b32_e64 v0, 0, 1, vcc
	v_add_u32_e32 v17, 0xfffffc10, v17
	v_or_b32_e32 v0, v19, v0
	v_lshl_or_b32 v18, v17, 12, v10
	v_cmp_gt_i32_e32 vcc, 1, v17
	v_cndmask_b32_e32 v0, v18, v0, vcc
	v_and_b32_e32 v18, 7, v0
	v_lshrrev_b32_e32 v12, 2, v0
	v_cvt_f64_f32_e32 v[0:1], v1
	v_cmp_lt_i32_e32 vcc, 5, v18
	v_cmp_eq_u32_e64 s[0:1], 3, v18
	s_or_b64 vcc, s[0:1], vcc
	v_mul_f64 v[0:1], v[0:1], s[14:15]
	v_addc_co_u32_e32 v12, vcc, 0, v12, vcc
	v_cmp_gt_i32_e32 vcc, 31, v17
	v_cndmask_b32_e32 v12, v6, v12, vcc
	v_cmp_ne_u32_e32 vcc, 0, v10
	v_cndmask_b32_e64 v10, 0, 1, vcc
	v_lshl_or_b32 v10, v10, 9, v6
	v_cmp_eq_u32_e32 vcc, s16, v17
	v_and_or_b32 v0, v1, s18, v0
	v_cndmask_b32_e32 v10, v12, v10, vcc
	v_lshrrev_b32_e32 v11, 16, v11
	v_cmp_ne_u32_e32 vcc, 0, v0
	v_and_or_b32 v12, v11, s10, v10
	v_cndmask_b32_e64 v0, 0, 1, vcc
	v_lshrrev_b32_e32 v10, 8, v1
	v_bfe_u32 v11, v1, 20, 11
	v_and_or_b32 v0, v10, s17, v0
	v_sub_u32_e32 v14, 0x3f1, v11
	v_or_b32_e32 v10, 0x1000, v0
	v_med3_i32 v14, v14, 0, 13
	v_lshrrev_b32_e32 v17, v14, v10
	v_lshlrev_b32_e32 v14, v14, v17
	v_cmp_ne_u32_e32 vcc, v14, v10
	v_cndmask_b32_e64 v10, 0, 1, vcc
	v_add_u32_e32 v14, 0xfffffc10, v11
	v_or_b32_e32 v10, v17, v10
	v_lshl_or_b32 v11, v14, 12, v0
	v_cmp_gt_i32_e32 vcc, 1, v14
	v_cndmask_b32_e32 v10, v11, v10, vcc
	v_and_b32_e32 v11, 7, v10
	v_cmp_lt_i32_e32 vcc, 5, v11
	v_cmp_eq_u32_e64 s[0:1], 3, v11
	v_lshrrev_b32_e32 v10, 2, v10
	s_or_b64 vcc, s[0:1], vcc
	v_addc_co_u32_e32 v17, vcc, 0, v10, vcc
	v_add_u32_e32 v10, 0x400, v36
	ds_read2_b32 v[10:11], v10 offset0:80 offset1:192
	v_cmp_gt_i32_e32 vcc, 31, v14
	v_cndmask_b32_e32 v17, v6, v17, vcc
	v_cmp_ne_u32_e32 vcc, 0, v0
	v_cndmask_b32_e64 v0, 0, 1, vcc
	s_waitcnt lgkmcnt(0)
	v_lshrrev_b32_e32 v19, 16, v10
	s_waitcnt vmcnt(5)
	v_mul_f16_sdwa v18, v19, v13 dst_sel:DWORD dst_unused:UNUSED_PAD src0_sel:DWORD src1_sel:WORD_1
	v_fma_f16 v18, v10, v13, v18
	v_cvt_f32_f16_e32 v18, v18
	v_lshl_or_b32 v0, v0, 9, v6
	v_cmp_eq_u32_e32 vcc, s16, v14
	v_cndmask_b32_e32 v0, v17, v0, vcc
	v_cvt_f64_f32_e32 v[17:18], v18
	v_lshrrev_b32_e32 v1, 16, v1
	v_and_or_b32 v14, v1, s10, v0
	v_and_b32_e32 v12, 0xffff, v12
	v_mul_f64 v[0:1], v[17:18], s[14:15]
	v_lshl_or_b32 v12, v14, 16, v12
	v_mov_b32_e32 v14, s2
	v_add_co_u32_e32 v4, vcc, s3, v4
	v_addc_co_u32_e32 v5, vcc, v5, v14, vcc
	global_store_dword v[4:5], v12, off
	v_and_or_b32 v0, v1, s18, v0
	v_cmp_ne_u32_e32 vcc, 0, v0
	v_cndmask_b32_e64 v0, 0, 1, vcc
	v_lshrrev_b32_e32 v12, 8, v1
	v_bfe_u32 v14, v1, 20, 11
	v_and_or_b32 v0, v12, s17, v0
	v_sub_u32_e32 v17, 0x3f1, v14
	v_or_b32_e32 v12, 0x1000, v0
	v_med3_i32 v17, v17, 0, 13
	v_lshrrev_b32_e32 v18, v17, v12
	v_lshlrev_b32_e32 v17, v17, v18
	v_mul_f16_sdwa v10, v10, v13 dst_sel:DWORD dst_unused:UNUSED_PAD src0_sel:DWORD src1_sel:WORD_1
	v_cmp_ne_u32_e32 vcc, v17, v12
	v_fma_f16 v10, v13, v19, -v10
	v_cndmask_b32_e64 v12, 0, 1, vcc
	v_add_u32_e32 v14, 0xfffffc10, v14
	v_cvt_f32_f16_e32 v10, v10
	v_or_b32_e32 v12, v18, v12
	v_lshl_or_b32 v17, v14, 12, v0
	v_cmp_gt_i32_e32 vcc, 1, v14
	v_cndmask_b32_e32 v12, v17, v12, vcc
	v_and_b32_e32 v17, 7, v12
	v_cmp_lt_i32_e32 vcc, 5, v17
	v_cmp_eq_u32_e64 s[0:1], 3, v17
	v_lshrrev_b32_e32 v17, 2, v12
	v_cvt_f64_f32_e32 v[12:13], v10
	s_or_b64 vcc, s[0:1], vcc
	v_addc_co_u32_e32 v10, vcc, 0, v17, vcc
	v_mul_f64 v[12:13], v[12:13], s[14:15]
	v_cmp_gt_i32_e32 vcc, 31, v14
	v_cndmask_b32_e32 v10, v6, v10, vcc
	v_cmp_ne_u32_e32 vcc, 0, v0
	v_cndmask_b32_e64 v0, 0, 1, vcc
	v_lshl_or_b32 v0, v0, 9, v6
	v_cmp_eq_u32_e32 vcc, s16, v14
	v_cndmask_b32_e32 v0, v10, v0, vcc
	v_lshrrev_b32_e32 v1, 16, v1
	v_and_or_b32 v10, v1, s10, v0
	v_and_or_b32 v0, v13, s18, v12
	v_cmp_ne_u32_e32 vcc, 0, v0
	v_cndmask_b32_e64 v0, 0, 1, vcc
	v_lshrrev_b32_e32 v1, 8, v13
	v_bfe_u32 v12, v13, 20, 11
	v_and_or_b32 v0, v1, s17, v0
	v_sub_u32_e32 v14, 0x3f1, v12
	v_or_b32_e32 v1, 0x1000, v0
	v_med3_i32 v14, v14, 0, 13
	v_lshrrev_b32_e32 v17, v14, v1
	v_lshlrev_b32_e32 v14, v14, v17
	v_cmp_ne_u32_e32 vcc, v14, v1
	v_cndmask_b32_e64 v1, 0, 1, vcc
	v_add_u32_e32 v12, 0xfffffc10, v12
	v_or_b32_e32 v1, v17, v1
	v_lshl_or_b32 v14, v12, 12, v0
	v_cmp_gt_i32_e32 vcc, 1, v12
	v_cndmask_b32_e32 v1, v14, v1, vcc
	v_and_b32_e32 v14, 7, v1
	v_cmp_lt_i32_e32 vcc, 5, v14
	v_cmp_eq_u32_e64 s[0:1], 3, v14
	v_lshrrev_b32_e32 v14, 16, v11
	v_lshrrev_b32_e32 v1, 2, v1
	s_or_b64 vcc, s[0:1], vcc
	s_waitcnt vmcnt(5)
	v_mul_f16_sdwa v17, v14, v15 dst_sel:DWORD dst_unused:UNUSED_PAD src0_sel:DWORD src1_sel:WORD_1
	v_addc_co_u32_e32 v1, vcc, 0, v1, vcc
	v_fma_f16 v17, v11, v15, v17
	v_cmp_gt_i32_e32 vcc, 31, v12
	v_cvt_f32_f16_e32 v17, v17
	v_cndmask_b32_e32 v1, v6, v1, vcc
	v_cmp_ne_u32_e32 vcc, 0, v0
	v_cndmask_b32_e64 v0, 0, 1, vcc
	v_lshl_or_b32 v0, v0, 9, v6
	v_cmp_eq_u32_e32 vcc, s16, v12
	v_cndmask_b32_e32 v12, v1, v0, vcc
	v_cvt_f64_f32_e32 v[0:1], v17
	v_lshrrev_b32_e32 v13, 16, v13
	v_and_or_b32 v12, v13, s10, v12
	v_and_b32_e32 v10, 0xffff, v10
	v_mul_f64 v[0:1], v[0:1], s[14:15]
	v_lshl_or_b32 v10, v12, 16, v10
	v_mov_b32_e32 v12, s2
	v_add_co_u32_e32 v4, vcc, s3, v4
	v_addc_co_u32_e32 v5, vcc, v5, v12, vcc
	global_store_dword v[4:5], v10, off
	v_and_or_b32 v0, v1, s18, v0
	v_cmp_ne_u32_e32 vcc, 0, v0
	v_cndmask_b32_e64 v0, 0, 1, vcc
	v_lshrrev_b32_e32 v10, 8, v1
	v_bfe_u32 v12, v1, 20, 11
	v_and_or_b32 v0, v10, s17, v0
	v_sub_u32_e32 v13, 0x3f1, v12
	v_or_b32_e32 v10, 0x1000, v0
	v_med3_i32 v13, v13, 0, 13
	v_lshrrev_b32_e32 v17, v13, v10
	v_lshlrev_b32_e32 v13, v13, v17
	v_mul_f16_sdwa v11, v11, v15 dst_sel:DWORD dst_unused:UNUSED_PAD src0_sel:DWORD src1_sel:WORD_1
	v_cmp_ne_u32_e32 vcc, v13, v10
	v_fma_f16 v11, v15, v14, -v11
	v_cndmask_b32_e64 v10, 0, 1, vcc
	v_add_u32_e32 v12, 0xfffffc10, v12
	v_cvt_f32_f16_e32 v11, v11
	v_or_b32_e32 v10, v17, v10
	v_lshl_or_b32 v13, v12, 12, v0
	v_cmp_gt_i32_e32 vcc, 1, v12
	v_cndmask_b32_e32 v10, v13, v10, vcc
	v_and_b32_e32 v13, 7, v10
	v_cmp_lt_i32_e32 vcc, 5, v13
	v_cmp_eq_u32_e64 s[0:1], 3, v13
	v_lshrrev_b32_e32 v13, 2, v10
	v_cvt_f64_f32_e32 v[10:11], v11
	s_or_b64 vcc, s[0:1], vcc
	v_addc_co_u32_e32 v13, vcc, 0, v13, vcc
	v_mul_f64 v[10:11], v[10:11], s[14:15]
	v_cmp_gt_i32_e32 vcc, 31, v12
	v_cndmask_b32_e32 v13, v6, v13, vcc
	v_cmp_ne_u32_e32 vcc, 0, v0
	v_cndmask_b32_e64 v0, 0, 1, vcc
	v_lshl_or_b32 v0, v0, 9, v6
	v_cmp_eq_u32_e32 vcc, s16, v12
	v_cndmask_b32_e32 v0, v13, v0, vcc
	v_lshrrev_b32_e32 v1, 16, v1
	v_and_or_b32 v14, v1, s10, v0
	v_and_or_b32 v0, v11, s18, v10
	v_cmp_ne_u32_e32 vcc, 0, v0
	v_cndmask_b32_e64 v0, 0, 1, vcc
	v_lshrrev_b32_e32 v1, 8, v11
	v_and_or_b32 v10, v1, s17, v0
	v_bfe_u32 v1, v11, 20, 11
	v_sub_u32_e32 v12, 0x3f1, v1
	v_or_b32_e32 v0, 0x1000, v10
	v_med3_i32 v12, v12, 0, 13
	v_lshrrev_b32_e32 v13, v12, v0
	v_lshlrev_b32_e32 v12, v12, v13
	v_cmp_ne_u32_e32 vcc, v12, v0
	v_cndmask_b32_e64 v0, 0, 1, vcc
	v_add_u32_e32 v12, 0xfffffc10, v1
	v_or_b32_e32 v0, v13, v0
	v_lshl_or_b32 v1, v12, 12, v10
	v_cmp_gt_i32_e32 vcc, 1, v12
	v_cndmask_b32_e32 v0, v1, v0, vcc
	v_and_b32_e32 v1, 7, v0
	v_cmp_lt_i32_e32 vcc, 5, v1
	v_cmp_eq_u32_e64 s[0:1], 3, v1
	v_lshrrev_b32_e32 v0, 2, v0
	s_or_b64 vcc, s[0:1], vcc
	v_addc_co_u32_e32 v13, vcc, 0, v0, vcc
	v_add_u32_e32 v0, 0x800, v36
	ds_read2_b32 v[0:1], v0 offset0:48 offset1:160
	v_cmp_gt_i32_e32 vcc, 31, v12
	v_cndmask_b32_e32 v13, v6, v13, vcc
	v_cmp_ne_u32_e32 vcc, 0, v10
	v_cndmask_b32_e64 v10, 0, 1, vcc
	s_waitcnt lgkmcnt(0)
	v_lshrrev_b32_e32 v15, 16, v0
	s_waitcnt vmcnt(5)
	v_mul_f16_sdwa v17, v15, v16 dst_sel:DWORD dst_unused:UNUSED_PAD src0_sel:DWORD src1_sel:WORD_1
	v_fma_f16 v17, v0, v16, v17
	v_cvt_f32_f16_e32 v17, v17
	v_lshl_or_b32 v10, v10, 9, v6
	v_cmp_eq_u32_e32 vcc, s16, v12
	v_cndmask_b32_e32 v10, v13, v10, vcc
	v_cvt_f64_f32_e32 v[12:13], v17
	v_lshrrev_b32_e32 v11, 16, v11
	v_and_or_b32 v17, v11, s10, v10
	v_add_co_u32_e32 v4, vcc, s3, v4
	v_mul_f64 v[10:11], v[12:13], s[14:15]
	v_mov_b32_e32 v13, s2
	v_and_b32_e32 v14, 0xffff, v14
	v_addc_co_u32_e32 v5, vcc, v5, v13, vcc
	v_lshl_or_b32 v12, v17, 16, v14
	global_store_dword v[4:5], v12, off
	v_mul_f16_sdwa v0, v0, v16 dst_sel:DWORD dst_unused:UNUSED_PAD src0_sel:DWORD src1_sel:WORD_1
	v_and_or_b32 v10, v11, s18, v10
	v_cmp_ne_u32_e32 vcc, 0, v10
	v_cndmask_b32_e64 v10, 0, 1, vcc
	v_lshrrev_b32_e32 v12, 8, v11
	v_bfe_u32 v13, v11, 20, 11
	v_and_or_b32 v10, v12, s17, v10
	v_sub_u32_e32 v14, 0x3f1, v13
	v_or_b32_e32 v12, 0x1000, v10
	v_med3_i32 v14, v14, 0, 13
	v_lshrrev_b32_e32 v17, v14, v12
	v_lshlrev_b32_e32 v14, v14, v17
	v_cmp_ne_u32_e32 vcc, v14, v12
	v_fma_f16 v0, v16, v15, -v0
	v_cndmask_b32_e64 v12, 0, 1, vcc
	v_add_u32_e32 v14, 0xfffffc10, v13
	v_cvt_f32_f16_e32 v0, v0
	v_or_b32_e32 v12, v17, v12
	v_lshl_or_b32 v13, v14, 12, v10
	v_cmp_gt_i32_e32 vcc, 1, v14
	v_cndmask_b32_e32 v12, v13, v12, vcc
	v_and_b32_e32 v13, 7, v12
	v_cmp_lt_i32_e32 vcc, 5, v13
	v_cmp_eq_u32_e64 s[0:1], 3, v13
	v_lshrrev_b32_e32 v15, 2, v12
	v_cvt_f64_f32_e32 v[12:13], v0
	s_or_b64 vcc, s[0:1], vcc
	v_addc_co_u32_e32 v0, vcc, 0, v15, vcc
	v_mul_f64 v[12:13], v[12:13], s[14:15]
	v_cmp_gt_i32_e32 vcc, 31, v14
	v_cndmask_b32_e32 v0, v6, v0, vcc
	v_cmp_ne_u32_e32 vcc, 0, v10
	v_cndmask_b32_e64 v10, 0, 1, vcc
	v_lshl_or_b32 v10, v10, 9, v6
	v_cmp_eq_u32_e32 vcc, s16, v14
	v_cndmask_b32_e32 v0, v0, v10, vcc
	v_lshrrev_b32_e32 v10, 16, v11
	v_and_or_b32 v0, v10, s10, v0
	v_and_or_b32 v10, v13, s18, v12
	v_cmp_ne_u32_e32 vcc, 0, v10
	v_cndmask_b32_e64 v10, 0, 1, vcc
	v_lshrrev_b32_e32 v11, 8, v13
	v_bfe_u32 v12, v13, 20, 11
	v_and_or_b32 v10, v11, s17, v10
	v_sub_u32_e32 v14, 0x3f1, v12
	v_or_b32_e32 v11, 0x1000, v10
	v_med3_i32 v14, v14, 0, 13
	v_lshrrev_b32_e32 v15, v14, v11
	v_lshlrev_b32_e32 v14, v14, v15
	v_cmp_ne_u32_e32 vcc, v14, v11
	v_cndmask_b32_e64 v11, 0, 1, vcc
	v_add_u32_e32 v12, 0xfffffc10, v12
	v_or_b32_e32 v11, v15, v11
	v_lshl_or_b32 v14, v12, 12, v10
	v_cmp_gt_i32_e32 vcc, 1, v12
	v_cndmask_b32_e32 v11, v14, v11, vcc
	v_and_b32_e32 v14, 7, v11
	v_cmp_lt_i32_e32 vcc, 5, v14
	v_cmp_eq_u32_e64 s[0:1], 3, v14
	v_lshrrev_b32_e32 v11, 2, v11
	s_or_b64 vcc, s[0:1], vcc
	v_addc_co_u32_e32 v11, vcc, 0, v11, vcc
	v_cmp_gt_i32_e32 vcc, 31, v12
	v_cndmask_b32_e32 v11, v6, v11, vcc
	v_cmp_ne_u32_e32 vcc, 0, v10
	v_cndmask_b32_e64 v10, 0, 1, vcc
	v_lshl_or_b32 v10, v10, 9, v6
	v_cmp_eq_u32_e32 vcc, s16, v12
	v_lshrrev_b32_e32 v14, 16, v1
	v_cndmask_b32_e32 v12, v11, v10, vcc
	v_lshrrev_b32_e32 v13, 16, v13
	s_waitcnt vmcnt(5)
	v_mul_f16_sdwa v15, v14, v9 dst_sel:DWORD dst_unused:UNUSED_PAD src0_sel:DWORD src1_sel:WORD_1
	v_and_or_b32 v12, v13, s10, v12
	global_load_dword v13, v36, s[6:7] offset:3136
	v_fma_f16 v15, v1, v9, v15
	v_cvt_f32_f16_e32 v15, v15
	v_and_b32_e32 v0, 0xffff, v0
	v_lshl_or_b32 v0, v12, 16, v0
	v_mov_b32_e32 v12, s2
	v_cvt_f64_f32_e32 v[10:11], v15
	v_add_co_u32_e32 v4, vcc, s3, v4
	v_addc_co_u32_e32 v5, vcc, v5, v12, vcc
	v_mul_f64 v[10:11], v[10:11], s[14:15]
	global_store_dword v[4:5], v0, off
	v_mul_f16_sdwa v1, v1, v9 dst_sel:DWORD dst_unused:UNUSED_PAD src0_sel:DWORD src1_sel:WORD_1
	v_fma_f16 v1, v9, v14, -v1
	v_cvt_f32_f16_e32 v1, v1
	v_and_or_b32 v0, v11, s18, v10
	v_cmp_ne_u32_e32 vcc, 0, v0
	v_cndmask_b32_e64 v0, 0, 1, vcc
	v_lshrrev_b32_e32 v10, 8, v11
	v_bfe_u32 v12, v11, 20, 11
	v_and_or_b32 v10, v10, s17, v0
	v_sub_u32_e32 v15, 0x3f1, v12
	v_or_b32_e32 v0, 0x1000, v10
	v_med3_i32 v15, v15, 0, 13
	v_lshrrev_b32_e32 v16, v15, v0
	v_lshlrev_b32_e32 v15, v15, v16
	v_cmp_ne_u32_e32 vcc, v15, v0
	v_cndmask_b32_e64 v0, 0, 1, vcc
	v_add_u32_e32 v12, 0xfffffc10, v12
	v_or_b32_e32 v0, v16, v0
	v_lshl_or_b32 v15, v12, 12, v10
	v_cmp_gt_i32_e32 vcc, 1, v12
	v_cndmask_b32_e32 v0, v15, v0, vcc
	v_and_b32_e32 v15, 7, v0
	v_lshrrev_b32_e32 v9, 2, v0
	v_cvt_f64_f32_e32 v[0:1], v1
	v_cmp_lt_i32_e32 vcc, 5, v15
	v_cmp_eq_u32_e64 s[0:1], 3, v15
	s_or_b64 vcc, s[0:1], vcc
	v_mul_f64 v[0:1], v[0:1], s[14:15]
	v_addc_co_u32_e32 v9, vcc, 0, v9, vcc
	v_cmp_gt_i32_e32 vcc, 31, v12
	v_cndmask_b32_e32 v9, v6, v9, vcc
	v_cmp_ne_u32_e32 vcc, 0, v10
	v_cndmask_b32_e64 v10, 0, 1, vcc
	v_lshl_or_b32 v10, v10, 9, v6
	v_cmp_eq_u32_e32 vcc, s16, v12
	v_and_or_b32 v0, v1, s18, v0
	v_cndmask_b32_e32 v9, v9, v10, vcc
	v_lshrrev_b32_e32 v10, 16, v11
	v_cmp_ne_u32_e32 vcc, 0, v0
	v_and_or_b32 v14, v10, s10, v9
	v_cndmask_b32_e64 v0, 0, 1, vcc
	v_lshrrev_b32_e32 v9, 8, v1
	v_bfe_u32 v10, v1, 20, 11
	v_and_or_b32 v0, v9, s17, v0
	v_sub_u32_e32 v11, 0x3f1, v10
	v_or_b32_e32 v9, 0x1000, v0
	v_med3_i32 v11, v11, 0, 13
	v_lshrrev_b32_e32 v12, v11, v9
	v_lshlrev_b32_e32 v11, v11, v12
	v_cmp_ne_u32_e32 vcc, v11, v9
	v_cndmask_b32_e64 v9, 0, 1, vcc
	v_add_u32_e32 v11, 0xfffffc10, v10
	v_or_b32_e32 v9, v12, v9
	v_lshl_or_b32 v10, v11, 12, v0
	v_cmp_gt_i32_e32 vcc, 1, v11
	v_cndmask_b32_e32 v9, v10, v9, vcc
	v_and_b32_e32 v10, 7, v9
	v_cmp_lt_i32_e32 vcc, 5, v10
	v_cmp_eq_u32_e64 s[0:1], 3, v10
	v_lshrrev_b32_e32 v9, 2, v9
	s_or_b64 vcc, s[0:1], vcc
	v_addc_co_u32_e32 v12, vcc, 0, v9, vcc
	v_add_u32_e32 v9, 0xc00, v36
	ds_read2_b32 v[9:10], v9 offset0:16 offset1:128
	global_load_dword v16, v36, s[6:7] offset:3584
	global_load_dword v17, v36, s[6:7] offset:4032
	v_cmp_gt_i32_e32 vcc, 31, v11
	v_cndmask_b32_e32 v12, v6, v12, vcc
	v_cmp_ne_u32_e32 vcc, 0, v0
	s_waitcnt lgkmcnt(0)
	v_lshrrev_b32_e32 v15, 16, v9
	s_waitcnt vmcnt(3)
	v_mul_f16_sdwa v18, v15, v13 dst_sel:DWORD dst_unused:UNUSED_PAD src0_sel:DWORD src1_sel:WORD_1
	v_fma_f16 v18, v9, v13, v18
	v_cvt_f32_f16_e32 v18, v18
	v_cndmask_b32_e64 v0, 0, 1, vcc
	v_lshl_or_b32 v0, v0, 9, v6
	v_cmp_eq_u32_e32 vcc, s16, v11
	v_cndmask_b32_e32 v0, v12, v0, vcc
	v_cvt_f64_f32_e32 v[11:12], v18
	v_lshrrev_b32_e32 v1, 16, v1
	v_and_or_b32 v18, v1, s10, v0
	v_add_co_u32_e32 v4, vcc, s3, v4
	v_mul_f64 v[0:1], v[11:12], s[14:15]
	v_mov_b32_e32 v12, s2
	v_and_b32_e32 v14, 0xffff, v14
	v_addc_co_u32_e32 v5, vcc, v5, v12, vcc
	v_lshl_or_b32 v11, v18, 16, v14
	global_store_dword v[4:5], v11, off
	v_mul_f16_sdwa v9, v9, v13 dst_sel:DWORD dst_unused:UNUSED_PAD src0_sel:DWORD src1_sel:WORD_1
	v_and_or_b32 v0, v1, s18, v0
	v_cmp_ne_u32_e32 vcc, 0, v0
	v_cndmask_b32_e64 v0, 0, 1, vcc
	v_lshrrev_b32_e32 v11, 8, v1
	v_bfe_u32 v12, v1, 20, 11
	v_and_or_b32 v0, v11, s17, v0
	v_sub_u32_e32 v14, 0x3f1, v12
	v_or_b32_e32 v11, 0x1000, v0
	v_med3_i32 v14, v14, 0, 13
	v_lshrrev_b32_e32 v18, v14, v11
	v_lshlrev_b32_e32 v14, v14, v18
	v_cmp_ne_u32_e32 vcc, v14, v11
	v_fma_f16 v9, v13, v15, -v9
	v_cndmask_b32_e64 v11, 0, 1, vcc
	v_add_u32_e32 v14, 0xfffffc10, v12
	v_cvt_f32_f16_e32 v9, v9
	v_or_b32_e32 v11, v18, v11
	v_lshl_or_b32 v12, v14, 12, v0
	v_cmp_gt_i32_e32 vcc, 1, v14
	v_cndmask_b32_e32 v11, v12, v11, vcc
	v_and_b32_e32 v12, 7, v11
	v_cmp_lt_i32_e32 vcc, 5, v12
	v_cmp_eq_u32_e64 s[0:1], 3, v12
	v_lshrrev_b32_e32 v13, 2, v11
	v_cvt_f64_f32_e32 v[11:12], v9
	s_or_b64 vcc, s[0:1], vcc
	v_addc_co_u32_e32 v9, vcc, 0, v13, vcc
	v_mul_f64 v[11:12], v[11:12], s[14:15]
	v_cmp_gt_i32_e32 vcc, 31, v14
	v_cndmask_b32_e32 v9, v6, v9, vcc
	v_cmp_ne_u32_e32 vcc, 0, v0
	v_cndmask_b32_e64 v0, 0, 1, vcc
	v_lshl_or_b32 v0, v0, 9, v6
	v_cmp_eq_u32_e32 vcc, s16, v14
	v_cndmask_b32_e32 v0, v9, v0, vcc
	v_lshrrev_b32_e32 v1, 16, v1
	v_and_or_b32 v9, v1, s10, v0
	v_and_or_b32 v0, v12, s18, v11
	v_cmp_ne_u32_e32 vcc, 0, v0
	v_cndmask_b32_e64 v0, 0, 1, vcc
	v_lshrrev_b32_e32 v1, 8, v12
	v_bfe_u32 v11, v12, 20, 11
	v_and_or_b32 v0, v1, s17, v0
	v_sub_u32_e32 v13, 0x3f1, v11
	v_or_b32_e32 v1, 0x1000, v0
	v_med3_i32 v13, v13, 0, 13
	v_lshrrev_b32_e32 v14, v13, v1
	v_lshlrev_b32_e32 v13, v13, v14
	v_cmp_ne_u32_e32 vcc, v13, v1
	v_cndmask_b32_e64 v1, 0, 1, vcc
	v_add_u32_e32 v11, 0xfffffc10, v11
	v_or_b32_e32 v1, v14, v1
	v_lshl_or_b32 v13, v11, 12, v0
	v_cmp_gt_i32_e32 vcc, 1, v11
	v_cndmask_b32_e32 v1, v13, v1, vcc
	v_and_b32_e32 v13, 7, v1
	v_cmp_lt_i32_e32 vcc, 5, v13
	v_cmp_eq_u32_e64 s[0:1], 3, v13
	v_lshrrev_b32_e32 v13, 16, v10
	v_lshrrev_b32_e32 v1, 2, v1
	s_or_b64 vcc, s[0:1], vcc
	s_waitcnt vmcnt(2)
	v_mul_f16_sdwa v14, v13, v16 dst_sel:DWORD dst_unused:UNUSED_PAD src0_sel:DWORD src1_sel:WORD_1
	v_addc_co_u32_e32 v1, vcc, 0, v1, vcc
	v_fma_f16 v14, v10, v16, v14
	v_cmp_gt_i32_e32 vcc, 31, v11
	v_cvt_f32_f16_e32 v14, v14
	v_cndmask_b32_e32 v1, v6, v1, vcc
	v_cmp_ne_u32_e32 vcc, 0, v0
	v_cndmask_b32_e64 v0, 0, 1, vcc
	v_lshl_or_b32 v0, v0, 9, v6
	v_cmp_eq_u32_e32 vcc, s16, v11
	v_cndmask_b32_e32 v11, v1, v0, vcc
	v_cvt_f64_f32_e32 v[0:1], v14
	v_lshrrev_b32_e32 v12, 16, v12
	v_and_or_b32 v11, v12, s10, v11
	v_and_b32_e32 v9, 0xffff, v9
	v_mul_f64 v[0:1], v[0:1], s[14:15]
	v_lshl_or_b32 v9, v11, 16, v9
	v_mov_b32_e32 v11, s2
	v_add_co_u32_e32 v4, vcc, s3, v4
	v_addc_co_u32_e32 v5, vcc, v5, v11, vcc
	global_store_dword v[4:5], v9, off
	v_and_or_b32 v0, v1, s18, v0
	v_cmp_ne_u32_e32 vcc, 0, v0
	v_cndmask_b32_e64 v0, 0, 1, vcc
	v_lshrrev_b32_e32 v9, 8, v1
	v_bfe_u32 v11, v1, 20, 11
	v_and_or_b32 v0, v9, s17, v0
	v_sub_u32_e32 v12, 0x3f1, v11
	v_or_b32_e32 v9, 0x1000, v0
	v_med3_i32 v12, v12, 0, 13
	v_lshrrev_b32_e32 v15, v12, v9
	v_lshlrev_b32_e32 v12, v12, v15
	v_mul_f16_sdwa v10, v10, v16 dst_sel:DWORD dst_unused:UNUSED_PAD src0_sel:DWORD src1_sel:WORD_1
	v_cmp_ne_u32_e32 vcc, v12, v9
	v_fma_f16 v10, v16, v13, -v10
	v_cndmask_b32_e64 v9, 0, 1, vcc
	v_add_u32_e32 v11, 0xfffffc10, v11
	v_cvt_f32_f16_e32 v10, v10
	v_or_b32_e32 v9, v15, v9
	v_lshl_or_b32 v12, v11, 12, v0
	v_cmp_gt_i32_e32 vcc, 1, v11
	v_cndmask_b32_e32 v9, v12, v9, vcc
	v_and_b32_e32 v12, 7, v9
	v_cmp_lt_i32_e32 vcc, 5, v12
	v_cmp_eq_u32_e64 s[0:1], 3, v12
	v_lshrrev_b32_e32 v12, 2, v9
	v_cvt_f64_f32_e32 v[9:10], v10
	s_or_b64 vcc, s[0:1], vcc
	v_addc_co_u32_e32 v12, vcc, 0, v12, vcc
	v_mul_f64 v[9:10], v[9:10], s[14:15]
	v_cmp_gt_i32_e32 vcc, 31, v11
	v_cndmask_b32_e32 v12, v6, v12, vcc
	v_cmp_ne_u32_e32 vcc, 0, v0
	v_cndmask_b32_e64 v0, 0, 1, vcc
	v_lshl_or_b32 v0, v0, 9, v6
	v_cmp_eq_u32_e32 vcc, s16, v11
	v_cndmask_b32_e32 v0, v12, v0, vcc
	v_lshrrev_b32_e32 v1, 16, v1
	v_and_or_b32 v13, v1, s10, v0
	v_and_or_b32 v0, v10, s18, v9
	v_cmp_ne_u32_e32 vcc, 0, v0
	v_cndmask_b32_e64 v0, 0, 1, vcc
	v_lshrrev_b32_e32 v1, 8, v10
	v_bfe_u32 v9, v10, 20, 11
	v_and_or_b32 v0, v1, s17, v0
	v_sub_u32_e32 v11, 0x3f1, v9
	v_or_b32_e32 v1, 0x1000, v0
	v_med3_i32 v11, v11, 0, 13
	v_lshrrev_b32_e32 v12, v11, v1
	v_lshlrev_b32_e32 v11, v11, v12
	v_cmp_ne_u32_e32 vcc, v11, v1
	v_cndmask_b32_e64 v1, 0, 1, vcc
	v_add_u32_e32 v9, 0xfffffc10, v9
	v_or_b32_e32 v1, v12, v1
	v_lshl_or_b32 v11, v9, 12, v0
	v_cmp_gt_i32_e32 vcc, 1, v9
	v_cndmask_b32_e32 v1, v11, v1, vcc
	v_and_b32_e32 v11, 7, v1
	v_cmp_lt_i32_e32 vcc, 5, v11
	v_cmp_eq_u32_e64 s[0:1], 3, v11
	v_lshrrev_b32_e32 v1, 2, v1
	s_or_b64 vcc, s[0:1], vcc
	v_addc_co_u32_e32 v1, vcc, 0, v1, vcc
	v_cmp_gt_i32_e32 vcc, 31, v9
	v_cndmask_b32_e32 v1, v6, v1, vcc
	v_cmp_ne_u32_e32 vcc, 0, v0
	v_cndmask_b32_e64 v0, 0, 1, vcc
	v_lshl_or_b32 v0, v0, 9, v6
	v_cmp_eq_u32_e32 vcc, s16, v9
	v_cndmask_b32_e32 v15, v1, v0, vcc
	v_add_co_u32_e32 v7, vcc, s19, v7
	v_lshrrev_b32_e32 v16, 16, v10
	v_addc_co_u32_e32 v8, vcc, 0, v8, vcc
	v_and_or_b32 v15, v16, s10, v15
	global_load_dword v16, v[7:8], off offset:384
	v_add_u32_e32 v9, 0xe00, v36
	v_or_b32_e32 v14, 0x380, v37
	ds_read2_b32 v[11:12], v9 offset0:112 offset1:224
	v_mad_u64_u32 v[0:1], s[0:1], s8, v14, 0
	v_and_b32_e32 v13, 0xffff, v13
	v_lshl_or_b32 v13, v15, 16, v13
	v_mad_u64_u32 v[9:10], s[0:1], s9, v14, v[1:2]
	s_waitcnt lgkmcnt(0)
	v_lshrrev_b32_e32 v14, 16, v11
	s_waitcnt vmcnt(3)
	v_mul_f16_sdwa v1, v14, v17 dst_sel:DWORD dst_unused:UNUSED_PAD src0_sel:DWORD src1_sel:WORD_1
	v_fma_f16 v1, v11, v17, v1
	v_cvt_f32_f16_e32 v10, v1
	v_mov_b32_e32 v1, v9
	v_lshlrev_b64 v[0:1], 2, v[0:1]
	v_cvt_f64_f32_e32 v[9:10], v10
	v_add_co_u32_e32 v0, vcc, v2, v0
	v_addc_co_u32_e32 v1, vcc, v3, v1, vcc
	v_mul_f64 v[9:10], v[9:10], s[14:15]
	global_store_dword v[0:1], v13, off
	v_and_or_b32 v0, v10, s18, v9
	v_cmp_ne_u32_e32 vcc, 0, v0
	v_cndmask_b32_e64 v0, 0, 1, vcc
	v_lshrrev_b32_e32 v1, 8, v10
	v_and_or_b32 v2, v1, s17, v0
	v_bfe_u32 v1, v10, 20, 11
	v_sub_u32_e32 v3, 0x3f1, v1
	v_or_b32_e32 v0, 0x1000, v2
	v_med3_i32 v3, v3, 0, 13
	v_lshrrev_b32_e32 v9, v3, v0
	v_lshlrev_b32_e32 v3, v3, v9
	v_cmp_ne_u32_e32 vcc, v3, v0
	v_cndmask_b32_e64 v0, 0, 1, vcc
	v_or_b32_e32 v0, v9, v0
	v_mul_f16_sdwa v9, v11, v17 dst_sel:DWORD dst_unused:UNUSED_PAD src0_sel:DWORD src1_sel:WORD_1
	v_fma_f16 v9, v17, v14, -v9
	v_add_u32_e32 v3, 0xfffffc10, v1
	v_cvt_f32_f16_e32 v9, v9
	v_lshl_or_b32 v1, v3, 12, v2
	v_cmp_gt_i32_e32 vcc, 1, v3
	v_cndmask_b32_e32 v0, v1, v0, vcc
	v_and_b32_e32 v1, 7, v0
	v_cmp_lt_i32_e32 vcc, 5, v1
	v_cmp_eq_u32_e64 s[0:1], 3, v1
	v_lshrrev_b32_e32 v11, 2, v0
	v_cvt_f64_f32_e32 v[0:1], v9
	s_or_b64 vcc, s[0:1], vcc
	v_addc_co_u32_e32 v9, vcc, 0, v11, vcc
	v_mul_f64 v[0:1], v[0:1], s[14:15]
	v_cmp_gt_i32_e32 vcc, 31, v3
	v_cndmask_b32_e32 v9, v6, v9, vcc
	v_cmp_ne_u32_e32 vcc, 0, v2
	v_cndmask_b32_e64 v2, 0, 1, vcc
	v_lshl_or_b32 v2, v2, 9, v6
	v_cmp_eq_u32_e32 vcc, s16, v3
	v_cndmask_b32_e32 v2, v9, v2, vcc
	v_and_or_b32 v0, v1, s18, v0
	v_lshrrev_b32_e32 v3, 16, v10
	v_cmp_ne_u32_e32 vcc, 0, v0
	v_and_or_b32 v9, v3, s10, v2
	v_cndmask_b32_e64 v0, 0, 1, vcc
	v_lshrrev_b32_e32 v2, 8, v1
	v_bfe_u32 v3, v1, 20, 11
	v_and_or_b32 v0, v2, s17, v0
	v_sub_u32_e32 v10, 0x3f1, v3
	v_or_b32_e32 v2, 0x1000, v0
	v_med3_i32 v10, v10, 0, 13
	v_lshrrev_b32_e32 v11, v10, v2
	v_lshlrev_b32_e32 v10, v10, v11
	v_cmp_ne_u32_e32 vcc, v10, v2
	v_cndmask_b32_e64 v2, 0, 1, vcc
	v_or_b32_e32 v2, v11, v2
	global_load_dword v11, v[7:8], off offset:832
	global_load_dword v13, v[7:8], off offset:1280
	v_add_u32_e32 v3, 0xfffffc10, v3
	v_lshl_or_b32 v10, v3, 12, v0
	v_cmp_gt_i32_e32 vcc, 1, v3
	v_cndmask_b32_e32 v2, v10, v2, vcc
	v_and_b32_e32 v10, 7, v2
	v_cmp_lt_i32_e32 vcc, 5, v10
	v_cmp_eq_u32_e64 s[0:1], 3, v10
	v_lshrrev_b32_e32 v10, 16, v12
	v_lshrrev_b32_e32 v2, 2, v2
	s_or_b64 vcc, s[0:1], vcc
	s_waitcnt vmcnt(3)
	v_mul_f16_sdwa v7, v10, v16 dst_sel:DWORD dst_unused:UNUSED_PAD src0_sel:DWORD src1_sel:WORD_1
	v_addc_co_u32_e32 v2, vcc, 0, v2, vcc
	v_fma_f16 v7, v12, v16, v7
	v_cmp_gt_i32_e32 vcc, 31, v3
	v_cvt_f32_f16_e32 v7, v7
	v_cndmask_b32_e32 v2, v6, v2, vcc
	v_cmp_ne_u32_e32 vcc, 0, v0
	v_cndmask_b32_e64 v0, 0, 1, vcc
	v_lshl_or_b32 v0, v0, 9, v6
	v_cmp_eq_u32_e32 vcc, s16, v3
	v_cndmask_b32_e32 v0, v2, v0, vcc
	v_cvt_f64_f32_e32 v[2:3], v7
	v_lshrrev_b32_e32 v1, 16, v1
	v_and_or_b32 v7, v1, s10, v0
	v_mov_b32_e32 v8, 0x380
	v_mul_f64 v[0:1], v[2:3], s[14:15]
	v_mad_u64_u32 v[2:3], s[0:1], s8, v8, v[4:5]
	v_and_b32_e32 v4, 0xffff, v9
	s_mul_i32 s0, s9, 0x380
	v_lshl_or_b32 v4, v7, 16, v4
	v_add_u32_e32 v3, s0, v3
	global_store_dword v[2:3], v4, off
	v_and_or_b32 v0, v1, s18, v0
	v_cmp_ne_u32_e32 vcc, 0, v0
	v_cndmask_b32_e64 v0, 0, 1, vcc
	v_lshrrev_b32_e32 v4, 8, v1
	v_bfe_u32 v5, v1, 20, 11
	v_and_or_b32 v0, v4, s17, v0
	v_sub_u32_e32 v7, 0x3f1, v5
	v_or_b32_e32 v4, 0x1000, v0
	v_med3_i32 v7, v7, 0, 13
	v_lshrrev_b32_e32 v8, v7, v4
	v_lshlrev_b32_e32 v7, v7, v8
	v_cmp_ne_u32_e32 vcc, v7, v4
	v_cndmask_b32_e64 v4, 0, 1, vcc
	v_or_b32_e32 v4, v8, v4
	v_mul_f16_sdwa v8, v12, v16 dst_sel:DWORD dst_unused:UNUSED_PAD src0_sel:DWORD src1_sel:WORD_1
	v_fma_f16 v8, v16, v10, -v8
	v_add_u32_e32 v7, 0xfffffc10, v5
	v_cvt_f32_f16_e32 v8, v8
	v_lshl_or_b32 v5, v7, 12, v0
	v_cmp_gt_i32_e32 vcc, 1, v7
	v_cndmask_b32_e32 v4, v5, v4, vcc
	v_and_b32_e32 v5, 7, v4
	v_cmp_lt_i32_e32 vcc, 5, v5
	v_cmp_eq_u32_e64 s[0:1], 3, v5
	v_lshrrev_b32_e32 v9, 2, v4
	v_cvt_f64_f32_e32 v[4:5], v8
	s_or_b64 vcc, s[0:1], vcc
	v_addc_co_u32_e32 v8, vcc, 0, v9, vcc
	v_mul_f64 v[4:5], v[4:5], s[14:15]
	v_cmp_gt_i32_e32 vcc, 31, v7
	v_cndmask_b32_e32 v8, v6, v8, vcc
	v_cmp_ne_u32_e32 vcc, 0, v0
	v_cndmask_b32_e64 v0, 0, 1, vcc
	v_lshl_or_b32 v0, v0, 9, v6
	v_cmp_eq_u32_e32 vcc, s16, v7
	v_cndmask_b32_e32 v0, v8, v0, vcc
	v_lshrrev_b32_e32 v1, 16, v1
	v_and_or_b32 v9, v1, s10, v0
	v_and_or_b32 v0, v5, s18, v4
	v_cmp_ne_u32_e32 vcc, 0, v0
	v_cndmask_b32_e64 v0, 0, 1, vcc
	v_lshrrev_b32_e32 v1, 8, v5
	v_and_or_b32 v4, v1, s17, v0
	v_bfe_u32 v1, v5, 20, 11
	v_sub_u32_e32 v7, 0x3f1, v1
	v_or_b32_e32 v0, 0x1000, v4
	v_med3_i32 v7, v7, 0, 13
	v_lshrrev_b32_e32 v8, v7, v0
	v_lshlrev_b32_e32 v7, v7, v8
	v_cmp_ne_u32_e32 vcc, v7, v0
	v_cndmask_b32_e64 v0, 0, 1, vcc
	v_add_u32_e32 v7, 0xfffffc10, v1
	v_or_b32_e32 v0, v8, v0
	v_lshl_or_b32 v1, v7, 12, v4
	v_cmp_gt_i32_e32 vcc, 1, v7
	v_cndmask_b32_e32 v0, v1, v0, vcc
	v_and_b32_e32 v1, 7, v0
	v_cmp_lt_i32_e32 vcc, 5, v1
	v_cmp_eq_u32_e64 s[0:1], 3, v1
	v_lshrrev_b32_e32 v0, 2, v0
	s_or_b64 vcc, s[0:1], vcc
	v_addc_co_u32_e32 v8, vcc, 0, v0, vcc
	v_add_u32_e32 v0, 0x1200, v36
	ds_read2_b32 v[0:1], v0 offset0:80 offset1:192
	v_cmp_gt_i32_e32 vcc, 31, v7
	v_cndmask_b32_e32 v8, v6, v8, vcc
	v_cmp_ne_u32_e32 vcc, 0, v4
	v_cndmask_b32_e64 v4, 0, 1, vcc
	s_waitcnt lgkmcnt(0)
	v_lshrrev_b32_e32 v10, 16, v0
	s_waitcnt vmcnt(2)
	v_mul_f16_sdwa v12, v10, v11 dst_sel:DWORD dst_unused:UNUSED_PAD src0_sel:DWORD src1_sel:WORD_1
	v_fma_f16 v12, v0, v11, v12
	v_cvt_f32_f16_e32 v12, v12
	v_lshl_or_b32 v4, v4, 9, v6
	v_cmp_eq_u32_e32 vcc, s16, v7
	v_cndmask_b32_e32 v4, v8, v4, vcc
	v_cvt_f64_f32_e32 v[7:8], v12
	v_lshrrev_b32_e32 v5, 16, v5
	v_and_or_b32 v12, v5, s10, v4
	v_add_co_u32_e32 v2, vcc, s3, v2
	v_mul_f64 v[4:5], v[7:8], s[14:15]
	v_mov_b32_e32 v8, s2
	v_and_b32_e32 v9, 0xffff, v9
	v_addc_co_u32_e32 v3, vcc, v3, v8, vcc
	v_lshl_or_b32 v7, v12, 16, v9
	global_store_dword v[2:3], v7, off
	v_mul_f16_sdwa v0, v0, v11 dst_sel:DWORD dst_unused:UNUSED_PAD src0_sel:DWORD src1_sel:WORD_1
	v_and_or_b32 v4, v5, s18, v4
	v_cmp_ne_u32_e32 vcc, 0, v4
	v_cndmask_b32_e64 v4, 0, 1, vcc
	v_lshrrev_b32_e32 v7, 8, v5
	v_bfe_u32 v8, v5, 20, 11
	v_and_or_b32 v4, v7, s17, v4
	v_sub_u32_e32 v9, 0x3f1, v8
	v_or_b32_e32 v7, 0x1000, v4
	v_med3_i32 v9, v9, 0, 13
	v_lshrrev_b32_e32 v12, v9, v7
	v_lshlrev_b32_e32 v9, v9, v12
	v_cmp_ne_u32_e32 vcc, v9, v7
	v_fma_f16 v0, v11, v10, -v0
	v_cndmask_b32_e64 v7, 0, 1, vcc
	v_add_u32_e32 v9, 0xfffffc10, v8
	v_cvt_f32_f16_e32 v0, v0
	v_or_b32_e32 v7, v12, v7
	v_lshl_or_b32 v8, v9, 12, v4
	v_cmp_gt_i32_e32 vcc, 1, v9
	v_cndmask_b32_e32 v7, v8, v7, vcc
	v_and_b32_e32 v8, 7, v7
	v_cmp_lt_i32_e32 vcc, 5, v8
	v_cmp_eq_u32_e64 s[0:1], 3, v8
	v_lshrrev_b32_e32 v10, 2, v7
	v_cvt_f64_f32_e32 v[7:8], v0
	s_or_b64 vcc, s[0:1], vcc
	v_addc_co_u32_e32 v0, vcc, 0, v10, vcc
	v_mul_f64 v[7:8], v[7:8], s[14:15]
	v_cmp_gt_i32_e32 vcc, 31, v9
	v_cndmask_b32_e32 v0, v6, v0, vcc
	v_cmp_ne_u32_e32 vcc, 0, v4
	v_cndmask_b32_e64 v4, 0, 1, vcc
	v_lshl_or_b32 v4, v4, 9, v6
	v_cmp_eq_u32_e32 vcc, s16, v9
	v_cndmask_b32_e32 v0, v0, v4, vcc
	v_lshrrev_b32_e32 v4, 16, v5
	v_and_or_b32 v0, v4, s10, v0
	v_and_or_b32 v4, v8, s18, v7
	v_cmp_ne_u32_e32 vcc, 0, v4
	v_cndmask_b32_e64 v4, 0, 1, vcc
	v_lshrrev_b32_e32 v5, 8, v8
	v_bfe_u32 v7, v8, 20, 11
	v_and_or_b32 v4, v5, s17, v4
	v_sub_u32_e32 v9, 0x3f1, v7
	v_or_b32_e32 v5, 0x1000, v4
	v_med3_i32 v9, v9, 0, 13
	v_lshrrev_b32_e32 v10, v9, v5
	v_lshlrev_b32_e32 v9, v9, v10
	v_cmp_ne_u32_e32 vcc, v9, v5
	v_cndmask_b32_e64 v5, 0, 1, vcc
	v_add_u32_e32 v7, 0xfffffc10, v7
	v_or_b32_e32 v5, v10, v5
	v_lshl_or_b32 v9, v7, 12, v4
	v_cmp_gt_i32_e32 vcc, 1, v7
	v_cndmask_b32_e32 v5, v9, v5, vcc
	v_and_b32_e32 v9, 7, v5
	v_cmp_lt_i32_e32 vcc, 5, v9
	v_cmp_eq_u32_e64 s[0:1], 3, v9
	v_lshrrev_b32_e32 v9, 16, v1
	v_lshrrev_b32_e32 v5, 2, v5
	s_or_b64 vcc, s[0:1], vcc
	s_waitcnt vmcnt(2)
	v_mul_f16_sdwa v10, v9, v13 dst_sel:DWORD dst_unused:UNUSED_PAD src0_sel:DWORD src1_sel:WORD_1
	v_addc_co_u32_e32 v5, vcc, 0, v5, vcc
	v_fma_f16 v10, v1, v13, v10
	v_cmp_gt_i32_e32 vcc, 31, v7
	v_cvt_f32_f16_e32 v10, v10
	v_cndmask_b32_e32 v5, v6, v5, vcc
	v_cmp_ne_u32_e32 vcc, 0, v4
	v_cndmask_b32_e64 v4, 0, 1, vcc
	v_lshl_or_b32 v4, v4, 9, v6
	v_cmp_eq_u32_e32 vcc, s16, v7
	v_cndmask_b32_e32 v7, v5, v4, vcc
	v_cvt_f64_f32_e32 v[4:5], v10
	v_lshrrev_b32_e32 v8, 16, v8
	v_and_or_b32 v7, v8, s10, v7
	v_and_b32_e32 v0, 0xffff, v0
	v_mul_f64 v[4:5], v[4:5], s[14:15]
	v_lshl_or_b32 v0, v7, 16, v0
	v_mov_b32_e32 v7, s2
	v_add_co_u32_e32 v2, vcc, s3, v2
	v_addc_co_u32_e32 v3, vcc, v3, v7, vcc
	global_store_dword v[2:3], v0, off
	v_and_or_b32 v0, v5, s18, v4
	v_cmp_ne_u32_e32 vcc, 0, v0
	v_cndmask_b32_e64 v0, 0, 1, vcc
	v_lshrrev_b32_e32 v4, 8, v5
	v_bfe_u32 v7, v5, 20, 11
	v_and_or_b32 v4, v4, s17, v0
	v_sub_u32_e32 v8, 0x3f1, v7
	v_or_b32_e32 v0, 0x1000, v4
	v_med3_i32 v8, v8, 0, 13
	v_lshrrev_b32_e32 v10, v8, v0
	v_lshlrev_b32_e32 v8, v8, v10
	v_mul_f16_sdwa v1, v1, v13 dst_sel:DWORD dst_unused:UNUSED_PAD src0_sel:DWORD src1_sel:WORD_1
	v_cmp_ne_u32_e32 vcc, v8, v0
	v_fma_f16 v1, v13, v9, -v1
	v_cndmask_b32_e64 v0, 0, 1, vcc
	v_add_u32_e32 v7, 0xfffffc10, v7
	v_cvt_f32_f16_e32 v1, v1
	v_or_b32_e32 v0, v10, v0
	v_lshl_or_b32 v8, v7, 12, v4
	v_cmp_gt_i32_e32 vcc, 1, v7
	v_cndmask_b32_e32 v0, v8, v0, vcc
	v_and_b32_e32 v8, 7, v0
	v_cmp_lt_i32_e32 vcc, 5, v8
	v_cmp_eq_u32_e64 s[0:1], 3, v8
	v_lshrrev_b32_e32 v8, 2, v0
	v_cvt_f64_f32_e32 v[0:1], v1
	s_or_b64 vcc, s[0:1], vcc
	v_addc_co_u32_e32 v8, vcc, 0, v8, vcc
	v_mul_f64 v[0:1], v[0:1], s[14:15]
	v_cmp_gt_i32_e32 vcc, 31, v7
	v_cndmask_b32_e32 v8, v6, v8, vcc
	v_cmp_ne_u32_e32 vcc, 0, v4
	v_cndmask_b32_e64 v4, 0, 1, vcc
	v_lshl_or_b32 v4, v4, 9, v6
	v_cmp_eq_u32_e32 vcc, s16, v7
	v_cndmask_b32_e32 v4, v8, v4, vcc
	v_and_or_b32 v0, v1, s18, v0
	v_lshrrev_b32_e32 v5, 16, v5
	v_cmp_ne_u32_e32 vcc, 0, v0
	v_and_or_b32 v4, v5, s10, v4
	v_cndmask_b32_e64 v0, 0, 1, vcc
	v_lshrrev_b32_e32 v5, 8, v1
	v_bfe_u32 v7, v1, 20, 11
	v_and_or_b32 v0, v5, s17, v0
	v_sub_u32_e32 v8, 0x3f1, v7
	v_or_b32_e32 v5, 0x1000, v0
	v_med3_i32 v8, v8, 0, 13
	v_lshrrev_b32_e32 v9, v8, v5
	v_lshlrev_b32_e32 v8, v8, v9
	v_cmp_ne_u32_e32 vcc, v8, v5
	v_cndmask_b32_e64 v5, 0, 1, vcc
	v_add_u32_e32 v7, 0xfffffc10, v7
	v_or_b32_e32 v5, v9, v5
	v_lshl_or_b32 v8, v7, 12, v0
	v_cmp_gt_i32_e32 vcc, 1, v7
	v_cndmask_b32_e32 v5, v8, v5, vcc
	v_and_b32_e32 v8, 7, v5
	v_cmp_lt_i32_e32 vcc, 5, v8
	v_cmp_eq_u32_e64 s[0:1], 3, v8
	v_lshrrev_b32_e32 v5, 2, v5
	s_or_b64 vcc, s[0:1], vcc
	v_addc_co_u32_e32 v5, vcc, 0, v5, vcc
	v_cmp_gt_i32_e32 vcc, 31, v7
	v_cndmask_b32_e32 v5, v6, v5, vcc
	v_cmp_ne_u32_e32 vcc, 0, v0
	v_cndmask_b32_e64 v0, 0, 1, vcc
	v_lshl_or_b32 v0, v0, 9, v6
	v_cmp_eq_u32_e32 vcc, s16, v7
	v_cndmask_b32_e32 v0, v5, v0, vcc
	v_lshrrev_b32_e32 v1, 16, v1
	v_and_or_b32 v0, v1, s10, v0
	v_and_b32_e32 v1, 0xffff, v4
	v_lshl_or_b32 v4, v0, 16, v1
	v_mov_b32_e32 v1, s2
	v_add_co_u32_e32 v0, vcc, s3, v2
	v_addc_co_u32_e32 v1, vcc, v3, v1, vcc
	global_store_dword v[0:1], v4, off
.LBB0_23:
	s_endpgm
	.section	.rodata,"a",@progbits
	.p2align	6, 0x0
	.amdhsa_kernel bluestein_single_fwd_len1456_dim1_half_op_CI_CI
		.amdhsa_group_segment_fixed_size 5824
		.amdhsa_private_segment_fixed_size 0
		.amdhsa_kernarg_size 104
		.amdhsa_user_sgpr_count 6
		.amdhsa_user_sgpr_private_segment_buffer 1
		.amdhsa_user_sgpr_dispatch_ptr 0
		.amdhsa_user_sgpr_queue_ptr 0
		.amdhsa_user_sgpr_kernarg_segment_ptr 1
		.amdhsa_user_sgpr_dispatch_id 0
		.amdhsa_user_sgpr_flat_scratch_init 0
		.amdhsa_user_sgpr_private_segment_size 0
		.amdhsa_uses_dynamic_stack 0
		.amdhsa_system_sgpr_private_segment_wavefront_offset 0
		.amdhsa_system_sgpr_workgroup_id_x 1
		.amdhsa_system_sgpr_workgroup_id_y 0
		.amdhsa_system_sgpr_workgroup_id_z 0
		.amdhsa_system_sgpr_workgroup_info 0
		.amdhsa_system_vgpr_workitem_id 0
		.amdhsa_next_free_vgpr 217
		.amdhsa_next_free_sgpr 35
		.amdhsa_reserve_vcc 1
		.amdhsa_reserve_flat_scratch 0
		.amdhsa_float_round_mode_32 0
		.amdhsa_float_round_mode_16_64 0
		.amdhsa_float_denorm_mode_32 3
		.amdhsa_float_denorm_mode_16_64 3
		.amdhsa_dx10_clamp 1
		.amdhsa_ieee_mode 1
		.amdhsa_fp16_overflow 0
		.amdhsa_exception_fp_ieee_invalid_op 0
		.amdhsa_exception_fp_denorm_src 0
		.amdhsa_exception_fp_ieee_div_zero 0
		.amdhsa_exception_fp_ieee_overflow 0
		.amdhsa_exception_fp_ieee_underflow 0
		.amdhsa_exception_fp_ieee_inexact 0
		.amdhsa_exception_int_div_zero 0
	.end_amdhsa_kernel
	.text
.Lfunc_end0:
	.size	bluestein_single_fwd_len1456_dim1_half_op_CI_CI, .Lfunc_end0-bluestein_single_fwd_len1456_dim1_half_op_CI_CI
                                        ; -- End function
	.section	.AMDGPU.csdata,"",@progbits
; Kernel info:
; codeLenInByte = 22132
; NumSgprs: 39
; NumVgprs: 217
; ScratchSize: 0
; MemoryBound: 0
; FloatMode: 240
; IeeeMode: 1
; LDSByteSize: 5824 bytes/workgroup (compile time only)
; SGPRBlocks: 4
; VGPRBlocks: 54
; NumSGPRsForWavesPerEU: 39
; NumVGPRsForWavesPerEU: 217
; Occupancy: 1
; WaveLimiterHint : 1
; COMPUTE_PGM_RSRC2:SCRATCH_EN: 0
; COMPUTE_PGM_RSRC2:USER_SGPR: 6
; COMPUTE_PGM_RSRC2:TRAP_HANDLER: 0
; COMPUTE_PGM_RSRC2:TGID_X_EN: 1
; COMPUTE_PGM_RSRC2:TGID_Y_EN: 0
; COMPUTE_PGM_RSRC2:TGID_Z_EN: 0
; COMPUTE_PGM_RSRC2:TIDIG_COMP_CNT: 0
	.type	__hip_cuid_f9c9425a60b006b8,@object ; @__hip_cuid_f9c9425a60b006b8
	.section	.bss,"aw",@nobits
	.globl	__hip_cuid_f9c9425a60b006b8
__hip_cuid_f9c9425a60b006b8:
	.byte	0                               ; 0x0
	.size	__hip_cuid_f9c9425a60b006b8, 1

	.ident	"AMD clang version 19.0.0git (https://github.com/RadeonOpenCompute/llvm-project roc-6.4.0 25133 c7fe45cf4b819c5991fe208aaa96edf142730f1d)"
	.section	".note.GNU-stack","",@progbits
	.addrsig
	.addrsig_sym __hip_cuid_f9c9425a60b006b8
	.amdgpu_metadata
---
amdhsa.kernels:
  - .args:
      - .actual_access:  read_only
        .address_space:  global
        .offset:         0
        .size:           8
        .value_kind:     global_buffer
      - .actual_access:  read_only
        .address_space:  global
        .offset:         8
        .size:           8
        .value_kind:     global_buffer
      - .actual_access:  read_only
        .address_space:  global
        .offset:         16
        .size:           8
        .value_kind:     global_buffer
      - .actual_access:  read_only
        .address_space:  global
        .offset:         24
        .size:           8
        .value_kind:     global_buffer
      - .actual_access:  read_only
        .address_space:  global
        .offset:         32
        .size:           8
        .value_kind:     global_buffer
      - .offset:         40
        .size:           8
        .value_kind:     by_value
      - .address_space:  global
        .offset:         48
        .size:           8
        .value_kind:     global_buffer
      - .address_space:  global
        .offset:         56
        .size:           8
        .value_kind:     global_buffer
      - .address_space:  global
        .offset:         64
        .size:           8
        .value_kind:     global_buffer
      - .address_space:  global
        .offset:         72
        .size:           8
        .value_kind:     global_buffer
      - .offset:         80
        .size:           4
        .value_kind:     by_value
      - .address_space:  global
        .offset:         88
        .size:           8
        .value_kind:     global_buffer
      - .address_space:  global
        .offset:         96
        .size:           8
        .value_kind:     global_buffer
    .group_segment_fixed_size: 5824
    .kernarg_segment_align: 8
    .kernarg_segment_size: 104
    .language:       OpenCL C
    .language_version:
      - 2
      - 0
    .max_flat_workgroup_size: 182
    .name:           bluestein_single_fwd_len1456_dim1_half_op_CI_CI
    .private_segment_fixed_size: 0
    .sgpr_count:     39
    .sgpr_spill_count: 0
    .symbol:         bluestein_single_fwd_len1456_dim1_half_op_CI_CI.kd
    .uniform_work_group_size: 1
    .uses_dynamic_stack: false
    .vgpr_count:     217
    .vgpr_spill_count: 0
    .wavefront_size: 64
amdhsa.target:   amdgcn-amd-amdhsa--gfx906
amdhsa.version:
  - 1
  - 2
...

	.end_amdgpu_metadata
